;; amdgpu-corpus repo=ROCm/rocFFT kind=compiled arch=gfx1030 opt=O3
	.text
	.amdgcn_target "amdgcn-amd-amdhsa--gfx1030"
	.amdhsa_code_object_version 6
	.protected	bluestein_single_back_len612_dim1_half_op_CI_CI ; -- Begin function bluestein_single_back_len612_dim1_half_op_CI_CI
	.globl	bluestein_single_back_len612_dim1_half_op_CI_CI
	.p2align	8
	.type	bluestein_single_back_len612_dim1_half_op_CI_CI,@function
bluestein_single_back_len612_dim1_half_op_CI_CI: ; @bluestein_single_back_len612_dim1_half_op_CI_CI
; %bb.0:
	s_load_dwordx4 s[0:3], s[4:5], 0x28
	v_mul_u32_u24_e32 v1, 0x506, v0
	v_mov_b32_e32 v5, 0
	v_lshrrev_b32_e32 v1, 16, v1
	v_add_nc_u32_e32 v4, s6, v1
	s_waitcnt lgkmcnt(0)
	v_cmp_gt_u64_e32 vcc_lo, s[0:1], v[4:5]
	s_and_saveexec_b32 s0, vcc_lo
	s_cbranch_execz .LBB0_15
; %bb.1:
	v_mul_lo_u16 v1, v1, 51
	s_clause 0x1
	s_load_dwordx2 s[12:13], s[4:5], 0x0
	s_load_dwordx2 s[14:15], s[4:5], 0x38
	v_sub_nc_u16 v0, v0, v1
	v_and_b32_e32 v31, 0xffff, v0
	v_cmp_gt_u16_e32 vcc_lo, 36, v0
	v_lshlrev_b32_e32 v30, 2, v31
	v_or_b32_e32 v29, 0x240, v31
	s_and_saveexec_b32 s1, vcc_lo
	s_cbranch_execz .LBB0_3
; %bb.2:
	s_load_dwordx2 s[6:7], s[4:5], 0x18
	s_waitcnt lgkmcnt(0)
	s_load_dwordx4 s[8:11], s[6:7], 0x0
	s_clause 0x5
	global_load_dword v11, v30, s[12:13] offset:144
	global_load_dword v12, v30, s[12:13] offset:288
	;; [unrolled: 1-line block ×6, first 2 shown]
	s_waitcnt lgkmcnt(0)
	v_mad_u64_u32 v[0:1], null, s10, v4, 0
	v_mad_u64_u32 v[2:3], null, s8, v31, 0
	;; [unrolled: 1-line block ×3, first 2 shown]
	s_mul_i32 s0, s9, 0x90
	s_mul_hi_u32 s6, s8, 0x90
	s_mul_i32 s7, s8, 0x90
	s_add_i32 s6, s6, s0
	v_mad_u64_u32 v[7:8], null, s11, v4, v[1:2]
	v_mad_u64_u32 v[8:9], null, s9, v31, v[3:4]
	;; [unrolled: 1-line block ×3, first 2 shown]
	v_mov_b32_e32 v1, v7
	v_mov_b32_e32 v3, v8
	v_lshlrev_b32_e32 v7, 2, v29
	v_lshlrev_b64 v[0:1], 2, v[0:1]
	v_mov_b32_e32 v6, v9
	v_lshlrev_b64 v[2:3], 2, v[2:3]
	v_add_co_u32 v8, s0, s2, v0
	v_add_co_ci_u32_e64 v9, s0, s3, v1, s0
	v_lshlrev_b64 v[0:1], 2, v[5:6]
	v_add_co_u32 v2, s0, v8, v2
	v_add_co_ci_u32_e64 v3, s0, v9, v3, s0
	v_add_co_u32 v0, s0, v8, v0
	v_add_co_ci_u32_e64 v1, s0, v9, v1, s0
	;; [unrolled: 2-line block ×3, first 2 shown]
	global_load_dword v8, v[2:3], off
	s_clause 0x1
	global_load_dword v9, v30, s[12:13]
	global_load_dword v7, v7, s[12:13]
	s_clause 0x1
	global_load_dword v10, v[0:1], off
	global_load_dword v17, v[5:6], off
	v_add_co_u32 v0, s0, v5, s7
	v_add_co_ci_u32_e64 v1, s0, s6, v6, s0
	v_add_co_u32 v2, s0, v0, s7
	v_add_co_ci_u32_e64 v3, s0, s6, v1, s0
	s_clause 0x1
	global_load_dword v18, v[0:1], off
	global_load_dword v19, v[2:3], off
	v_add_co_u32 v0, s0, v2, s7
	v_add_co_ci_u32_e64 v1, s0, s6, v3, s0
	v_add_co_u32 v2, s0, v0, s7
	v_add_co_ci_u32_e64 v3, s0, s6, v1, s0
	v_add_co_u32 v20, s0, s12, v30
	v_add_co_ci_u32_e64 v21, null, s13, 0, s0
	global_load_dword v22, v[0:1], off
	global_load_dword v23, v[2:3], off
	v_add_co_u32 v0, s0, v2, s7
	v_add_co_ci_u32_e64 v1, s0, s6, v3, s0
	s_clause 0x2
	global_load_dword v24, v30, s[12:13] offset:1008
	global_load_dword v25, v30, s[12:13] offset:1152
	;; [unrolled: 1-line block ×3, first 2 shown]
	v_add_co_u32 v2, s0, v0, s7
	v_add_co_ci_u32_e64 v3, s0, s6, v1, s0
	global_load_dword v27, v[0:1], off
	v_add_co_u32 v0, s0, v2, s7
	v_add_co_ci_u32_e64 v1, s0, s6, v3, s0
	global_load_dword v28, v[2:3], off
	;; [unrolled: 3-line block ×5, first 2 shown]
	v_add_co_u32 v0, s0, v2, s7
	v_add_co_ci_u32_e64 v1, s0, s6, v3, s0
	s_clause 0x1
	global_load_dword v35, v30, s[12:13] offset:1440
	global_load_dword v36, v30, s[12:13] offset:1584
	v_add_co_u32 v5, s0, v0, s7
	v_add_co_ci_u32_e64 v6, s0, s6, v1, s0
	global_load_dword v37, v[2:3], off
	v_add_co_u32 v2, s0, v5, s7
	v_add_co_ci_u32_e64 v3, s0, s6, v6, s0
	global_load_dword v38, v[0:1], off
	s_clause 0x1
	global_load_dword v39, v30, s[12:13] offset:1728
	global_load_dword v40, v30, s[12:13] offset:1872
	global_load_dword v5, v[5:6], off
	global_load_dword v6, v[2:3], off
	v_add_co_u32 v0, s0, v2, s7
	v_add_co_ci_u32_e64 v1, s0, s6, v3, s0
	v_add_co_u32 v2, s0, 0x800, v20
	v_add_co_ci_u32_e64 v3, s0, 0, v21, s0
	global_load_dword v0, v[0:1], off
	s_clause 0x1
	global_load_dword v1, v30, s[12:13] offset:2016
	global_load_dword v2, v[2:3], off offset:112
	v_add_nc_u32_e32 v3, 0x400, v30
	v_add_nc_u32_e32 v20, 0x600, v30
	s_waitcnt vmcnt(27)
	v_lshrrev_b32_e32 v21, 16, v8
	s_waitcnt vmcnt(26)
	v_mul_f16_sdwa v41, v9, v8 dst_sel:DWORD dst_unused:UNUSED_PAD src0_sel:WORD_1 src1_sel:DWORD
	s_waitcnt vmcnt(24)
	v_lshrrev_b32_e32 v42, 16, v10
	s_waitcnt vmcnt(23)
	v_mul_f16_sdwa v45, v11, v17 dst_sel:DWORD dst_unused:UNUSED_PAD src0_sel:WORD_1 src1_sel:DWORD
	v_mul_f16_sdwa v44, v9, v21 dst_sel:DWORD dst_unused:UNUSED_PAD src0_sel:WORD_1 src1_sel:DWORD
	v_fma_f16 v21, v9, v21, -v41
	v_lshrrev_b32_e32 v41, 16, v17
	v_mul_f16_sdwa v43, v7, v10 dst_sel:DWORD dst_unused:UNUSED_PAD src0_sel:WORD_1 src1_sel:DWORD
	v_mul_f16_sdwa v46, v7, v42 dst_sel:DWORD dst_unused:UNUSED_PAD src0_sel:WORD_1 src1_sel:DWORD
	v_fmac_f16_e32 v44, v9, v8
	v_mul_f16_sdwa v8, v11, v41 dst_sel:DWORD dst_unused:UNUSED_PAD src0_sel:WORD_1 src1_sel:DWORD
	v_fma_f16 v9, v11, v41, -v45
	s_waitcnt vmcnt(22)
	v_lshrrev_b32_e32 v41, 16, v18
	v_fma_f16 v42, v7, v42, -v43
	v_mul_f16_sdwa v43, v12, v18 dst_sel:DWORD dst_unused:UNUSED_PAD src0_sel:WORD_1 src1_sel:DWORD
	v_fmac_f16_e32 v46, v7, v10
	v_pack_b32_f16 v7, v44, v21
	v_fmac_f16_e32 v8, v11, v17
	v_mul_f16_sdwa v10, v12, v41 dst_sel:DWORD dst_unused:UNUSED_PAD src0_sel:WORD_1 src1_sel:DWORD
	s_waitcnt vmcnt(21)
	v_lshrrev_b32_e32 v17, 16, v19
	v_mul_f16_sdwa v21, v13, v19 dst_sel:DWORD dst_unused:UNUSED_PAD src0_sel:WORD_1 src1_sel:DWORD
	v_fma_f16 v11, v12, v41, -v43
	v_pack_b32_f16 v8, v8, v9
	v_fmac_f16_e32 v10, v12, v18
	v_mul_f16_sdwa v9, v13, v17 dst_sel:DWORD dst_unused:UNUSED_PAD src0_sel:WORD_1 src1_sel:DWORD
	v_fma_f16 v12, v13, v17, -v21
	v_pack_b32_f16 v41, v46, v42
	ds_write2_b32 v30, v7, v8 offset1:36
	s_waitcnt vmcnt(20)
	v_lshrrev_b32_e32 v17, 16, v22
	v_mul_f16_sdwa v18, v14, v22 dst_sel:DWORD dst_unused:UNUSED_PAD src0_sel:WORD_1 src1_sel:DWORD
	v_pack_b32_f16 v7, v10, v11
	v_fmac_f16_e32 v9, v13, v19
	s_waitcnt vmcnt(19)
	v_lshrrev_b32_e32 v10, 16, v23
	v_mul_f16_sdwa v8, v14, v17 dst_sel:DWORD dst_unused:UNUSED_PAD src0_sel:WORD_1 src1_sel:DWORD
	v_mul_f16_sdwa v11, v15, v23 dst_sel:DWORD dst_unused:UNUSED_PAD src0_sel:WORD_1 src1_sel:DWORD
	v_fma_f16 v13, v14, v17, -v18
	v_pack_b32_f16 v9, v9, v12
	v_mul_f16_sdwa v12, v15, v10 dst_sel:DWORD dst_unused:UNUSED_PAD src0_sel:WORD_1 src1_sel:DWORD
	v_fmac_f16_e32 v8, v14, v22
	v_fma_f16 v10, v15, v10, -v11
	s_waitcnt vmcnt(15)
	v_lshrrev_b32_e32 v11, 16, v27
	v_mul_f16_sdwa v14, v16, v27 dst_sel:DWORD dst_unused:UNUSED_PAD src0_sel:WORD_1 src1_sel:DWORD
	ds_write2_b32 v30, v7, v9 offset0:72 offset1:108
	v_pack_b32_f16 v7, v8, v13
	v_fmac_f16_e32 v12, v15, v23
	v_mul_f16_sdwa v8, v16, v11 dst_sel:DWORD dst_unused:UNUSED_PAD src0_sel:WORD_1 src1_sel:DWORD
	s_waitcnt vmcnt(14)
	v_lshrrev_b32_e32 v9, 16, v28
	v_mul_f16_sdwa v13, v24, v28 dst_sel:DWORD dst_unused:UNUSED_PAD src0_sel:WORD_1 src1_sel:DWORD
	v_fma_f16 v11, v16, v11, -v14
	v_pack_b32_f16 v10, v12, v10
	v_fmac_f16_e32 v8, v16, v27
	v_mul_f16_sdwa v12, v24, v9 dst_sel:DWORD dst_unused:UNUSED_PAD src0_sel:WORD_1 src1_sel:DWORD
	v_fma_f16 v9, v24, v9, -v13
	s_waitcnt vmcnt(13)
	v_lshrrev_b32_e32 v13, 16, v32
	v_mul_f16_sdwa v14, v25, v32 dst_sel:DWORD dst_unused:UNUSED_PAD src0_sel:WORD_1 src1_sel:DWORD
	ds_write2_b32 v30, v7, v10 offset0:144 offset1:180
	v_pack_b32_f16 v7, v8, v11
	v_fmac_f16_e32 v12, v24, v28
	v_mul_f16_sdwa v8, v25, v13 dst_sel:DWORD dst_unused:UNUSED_PAD src0_sel:WORD_1 src1_sel:DWORD
	s_waitcnt vmcnt(12)
	v_lshrrev_b32_e32 v10, 16, v33
	v_fma_f16 v11, v25, v13, -v14
	v_mul_f16_sdwa v13, v26, v33 dst_sel:DWORD dst_unused:UNUSED_PAD src0_sel:WORD_1 src1_sel:DWORD
	v_pack_b32_f16 v9, v12, v9
	v_fmac_f16_e32 v8, v25, v32
	v_mul_f16_sdwa v12, v26, v10 dst_sel:DWORD dst_unused:UNUSED_PAD src0_sel:WORD_1 src1_sel:DWORD
	s_waitcnt vmcnt(11)
	v_lshrrev_b32_e32 v14, 16, v34
	s_waitcnt vmcnt(10)
	v_mul_f16_sdwa v15, v35, v34 dst_sel:DWORD dst_unused:UNUSED_PAD src0_sel:WORD_1 src1_sel:DWORD
	v_fma_f16 v10, v26, v10, -v13
	v_pack_b32_f16 v8, v8, v11
	v_fmac_f16_e32 v12, v26, v33
	v_mul_f16_sdwa v11, v35, v14 dst_sel:DWORD dst_unused:UNUSED_PAD src0_sel:WORD_1 src1_sel:DWORD
	v_fma_f16 v13, v35, v14, -v15
	s_waitcnt vmcnt(8)
	v_lshrrev_b32_e32 v14, 16, v37
	v_mul_f16_sdwa v15, v36, v37 dst_sel:DWORD dst_unused:UNUSED_PAD src0_sel:WORD_1 src1_sel:DWORD
	v_pack_b32_f16 v10, v12, v10
	v_fmac_f16_e32 v11, v35, v34
	s_waitcnt vmcnt(7)
	v_lshrrev_b32_e32 v12, 16, v38
	v_mul_f16_sdwa v16, v36, v14 dst_sel:DWORD dst_unused:UNUSED_PAD src0_sel:WORD_1 src1_sel:DWORD
	v_fma_f16 v14, v36, v14, -v15
	s_waitcnt vmcnt(6)
	v_mul_f16_sdwa v15, v39, v38 dst_sel:DWORD dst_unused:UNUSED_PAD src0_sel:WORD_1 src1_sel:DWORD
	s_waitcnt vmcnt(4)
	v_lshrrev_b32_e32 v17, 16, v5
	v_pack_b32_f16 v11, v11, v13
	v_mul_f16_sdwa v13, v39, v12 dst_sel:DWORD dst_unused:UNUSED_PAD src0_sel:WORD_1 src1_sel:DWORD
	s_waitcnt vmcnt(3)
	v_lshrrev_b32_e32 v18, 16, v6
	v_fma_f16 v12, v39, v12, -v15
	v_mul_f16_sdwa v15, v40, v5 dst_sel:DWORD dst_unused:UNUSED_PAD src0_sel:WORD_1 src1_sel:DWORD
	s_waitcnt vmcnt(2)
	v_lshrrev_b32_e32 v21, 16, v0
	v_mul_f16_sdwa v19, v40, v17 dst_sel:DWORD dst_unused:UNUSED_PAD src0_sel:WORD_1 src1_sel:DWORD
	s_waitcnt vmcnt(1)
	v_mul_f16_sdwa v22, v1, v18 dst_sel:DWORD dst_unused:UNUSED_PAD src0_sel:WORD_1 src1_sel:DWORD
	s_waitcnt vmcnt(0)
	v_mul_f16_sdwa v23, v2, v0 dst_sel:DWORD dst_unused:UNUSED_PAD src0_sel:WORD_1 src1_sel:DWORD
	v_fma_f16 v15, v40, v17, -v15
	v_mul_f16_sdwa v17, v1, v6 dst_sel:DWORD dst_unused:UNUSED_PAD src0_sel:WORD_1 src1_sel:DWORD
	v_mul_f16_sdwa v24, v2, v21 dst_sel:DWORD dst_unused:UNUSED_PAD src0_sel:WORD_1 src1_sel:DWORD
	v_fmac_f16_e32 v16, v36, v37
	v_fmac_f16_e32 v13, v39, v38
	;; [unrolled: 1-line block ×3, first 2 shown]
	v_fma_f16 v5, v1, v18, -v17
	v_fmac_f16_e32 v22, v1, v6
	v_fma_f16 v1, v2, v21, -v23
	v_fmac_f16_e32 v24, v2, v0
	v_pack_b32_f16 v0, v16, v14
	v_pack_b32_f16 v2, v13, v12
	;; [unrolled: 1-line block ×5, first 2 shown]
	ds_write2_b32 v30, v7, v9 offset0:216 offset1:252
	ds_write2_b32 v3, v8, v10 offset0:32 offset1:68
	;; [unrolled: 1-line block ×5, first 2 shown]
	ds_write_b32 v30, v41 offset:2304
.LBB0_3:
	s_or_b32 exec_lo, exec_lo, s1
	s_clause 0x1
	s_load_dwordx2 s[2:3], s[4:5], 0x20
	s_load_dwordx2 s[0:1], s[4:5], 0x8
	v_mov_b32_e32 v9, 0
	s_waitcnt lgkmcnt(0)
	s_barrier
	buffer_gl0_inv
                                        ; implicit-def: $vgpr21
                                        ; implicit-def: $vgpr1
                                        ; implicit-def: $vgpr3
                                        ; implicit-def: $vgpr12
                                        ; implicit-def: $vgpr14
                                        ; implicit-def: $vgpr16
                                        ; implicit-def: $vgpr18
                                        ; implicit-def: $vgpr20
                                        ; implicit-def: $vgpr49
                                        ; kill: def $vgpr0 killed $sgpr0 killed $exec
	s_and_saveexec_b32 s4, vcc_lo
	s_cbranch_execz .LBB0_5
; %bb.4:
	v_add_nc_u32_e32 v0, 0x400, v30
	v_add_nc_u32_e32 v1, 0x600, v30
	ds_read2_b32 v[9:10], v30 offset1:36
	ds_read2_b32 v[19:20], v30 offset0:72 offset1:108
	ds_read2_b32 v[17:18], v30 offset0:144 offset1:180
	;; [unrolled: 1-line block ×7, first 2 shown]
	ds_read_b32 v21, v30 offset:2304
	s_waitcnt lgkmcnt(7)
	v_alignbit_b32 v49, v19, v19, 16
.LBB0_5:
	s_or_b32 exec_lo, exec_lo, s4
	s_waitcnt lgkmcnt(0)
	v_pk_add_f16 v19, v10, v21 neg_lo:[0,1] neg_hi:[0,1]
	v_mov_b32_e32 v97, 0xbbf7
	v_mov_b32_e32 v81, 0xbbb2
	v_pk_add_f16 v23, v21, v10
	v_pk_add_f16 v22, v1, v49 op_sel:[1,0] op_sel_hi:[0,1]
	v_pk_add_f16 v24, v49, v1 op_sel:[1,0] op_sel_hi:[0,1] neg_lo:[0,1] neg_hi:[0,1]
	v_mul_f16_sdwa v47, v19, v97 dst_sel:DWORD dst_unused:UNUSED_PAD src0_sel:WORD_1 src1_sel:DWORD
	v_mov_b32_e32 v99, 0xb1e1
	v_mul_f16_sdwa v53, v19, v81 dst_sel:DWORD dst_unused:UNUSED_PAD src0_sel:WORD_1 src1_sel:DWORD
	v_lshrrev_b32_e32 v54, 16, v22
	v_mov_b32_e32 v7, 0x3836
	v_fmamk_f16 v5, v23, 0x2de8, v47
	v_mul_f16_sdwa v48, v24, v99 dst_sel:DWORD dst_unused:UNUSED_PAD src0_sel:WORD_1 src1_sel:DWORD
	v_fmamk_f16 v6, v23, 0xb461, v53
	v_pk_add_f16 v25, v20, v0 neg_lo:[0,1] neg_hi:[0,1]
	v_mul_f16_sdwa v58, v24, v7 dst_sel:DWORD dst_unused:UNUSED_PAD src0_sel:WORD_1 src1_sel:DWORD
	v_add_f16_e32 v5, v5, v9
	v_fmamk_f16 v26, v54, 0xbbdd, v48
	v_mov_b32_e32 v132, 0x3bb2
	v_add_f16_e32 v6, v6, v9
	v_mov_b32_e32 v113, 0x3964
	v_fmamk_f16 v7, v54, 0xbacd, v58
	v_add_f16_e32 v5, v26, v5
	v_pk_add_f16 v27, v0, v20
	v_mul_f16_sdwa v50, v25, v132 dst_sel:DWORD dst_unused:UNUSED_PAD src0_sel:WORD_1 src1_sel:DWORD
	v_pk_add_f16 v26, v17, v3 neg_lo:[0,1] neg_hi:[0,1]
	v_mov_b32_e32 v32, 0x35c8
	v_mov_b32_e32 v8, 0xbb29
	v_mul_f16_sdwa v60, v25, v113 dst_sel:DWORD dst_unused:UNUSED_PAD src0_sel:WORD_1 src1_sel:DWORD
	v_add_f16_e32 v6, v7, v6
	v_fmamk_f16 v7, v27, 0xb461, v50
	v_pk_add_f16 v28, v3, v17
	v_mul_f16_sdwa v51, v26, v32 dst_sel:DWORD dst_unused:UNUSED_PAD src0_sel:WORD_1 src1_sel:DWORD
	v_pk_add_f16 v32, v18, v2 neg_lo:[0,1] neg_hi:[0,1]
	v_fmamk_f16 v33, v27, 0x39e9, v60
	v_mul_f16_sdwa v65, v26, v8 dst_sel:DWORD dst_unused:UNUSED_PAD src0_sel:WORD_1 src1_sel:DWORD
	v_add_f16_e32 v5, v7, v5
	v_fmamk_f16 v7, v28, 0x3b76, v51
	v_pk_add_f16 v35, v2, v18
	v_mul_f16_sdwa v52, v32, v8 dst_sel:DWORD dst_unused:UNUSED_PAD src0_sel:WORD_1 src1_sel:DWORD
	v_add_f16_e32 v6, v33, v6
	v_fmamk_f16 v33, v28, 0x3722, v65
	v_add_f16_e32 v5, v7, v5
	v_mul_f16_sdwa v69, v32, v99 dst_sel:DWORD dst_unused:UNUSED_PAD src0_sel:WORD_1 src1_sel:DWORD
	v_fmamk_f16 v7, v35, 0x3722, v52
	v_pk_add_f16 v41, v15, v12 neg_lo:[0,1] neg_hi:[0,1]
	v_mov_b32_e32 v137, 0xb836
	v_mov_b32_e32 v143, 0x3bf7
	v_add_f16_e32 v6, v33, v6
	v_add_f16_e32 v5, v7, v5
	v_fmamk_f16 v7, v35, 0xbbdd, v69
	v_pk_add_f16 v43, v12, v15
	v_mul_f16_sdwa v56, v41, v137 dst_sel:DWORD dst_unused:UNUSED_PAD src0_sel:WORD_1 src1_sel:DWORD
	v_mul_f16_sdwa v75, v41, v143 dst_sel:DWORD dst_unused:UNUSED_PAD src0_sel:WORD_1 src1_sel:DWORD
	v_pk_add_f16 v42, v16, v11 neg_lo:[0,1] neg_hi:[0,1]
	v_mov_b32_e32 v140, 0x3a62
	v_mov_b32_e32 v141, 0xb5c8
	v_add_f16_e32 v6, v7, v6
	v_fmamk_f16 v7, v43, 0xbacd, v56
	v_fmamk_f16 v33, v43, 0x2de8, v75
	v_pk_add_f16 v45, v11, v16
	v_mul_f16_sdwa v59, v42, v140 dst_sel:DWORD dst_unused:UNUSED_PAD src0_sel:WORD_1 src1_sel:DWORD
	v_mul_f16_sdwa v80, v42, v141 dst_sel:DWORD dst_unused:UNUSED_PAD src0_sel:WORD_1 src1_sel:DWORD
	v_pk_add_f16 v44, v13, v14 neg_lo:[0,1] neg_hi:[0,1]
	v_add_f16_e32 v5, v7, v5
	v_add_f16_e32 v6, v33, v6
	v_fmamk_f16 v7, v45, 0xb8d2, v59
	v_fmamk_f16 v33, v45, 0x3b76, v80
	v_pk_add_f16 v46, v14, v13
	v_mul_f16_sdwa v62, v44, v113 dst_sel:DWORD dst_unused:UNUSED_PAD src0_sel:WORD_1 src1_sel:DWORD
	v_mov_b32_e32 v146, 0xba62
	v_mul_f16_sdwa v55, v19, v141 dst_sel:DWORD dst_unused:UNUSED_PAD src0_sel:WORD_1 src1_sel:DWORD
	v_mov_b32_e32 v145, 0xb964
	v_add_f16_e32 v5, v7, v5
	v_add_f16_e32 v7, v33, v6
	v_fmamk_f16 v6, v46, 0x39e9, v62
	v_mul_f16_sdwa v90, v44, v146 dst_sel:DWORD dst_unused:UNUSED_PAD src0_sel:WORD_1 src1_sel:DWORD
	v_fmamk_f16 v33, v23, 0x3b76, v55
	v_lshrrev_b32_e32 v128, 16, v23
	v_mul_f16_e32 v64, 0xb964, v19
	v_mul_f16_sdwa v57, v24, v145 dst_sel:DWORD dst_unused:UNUSED_PAD src0_sel:WORD_1 src1_sel:DWORD
	v_add_f16_e32 v6, v6, v5
	v_fmamk_f16 v5, v46, 0xb8d2, v90
	v_add_f16_e32 v33, v33, v9
	v_fma_f16 v34, v128, 0x39e9, -v64
	v_mul_f16_e32 v66, 0xbbf7, v24
	v_fmamk_f16 v36, v54, 0x39e9, v57
	v_mul_f16_sdwa v71, v19, v8 dst_sel:DWORD dst_unused:UNUSED_PAD src0_sel:WORD_1 src1_sel:DWORD
	v_mul_f16_e32 v84, 0xbb29, v19
	v_mul_f16_e32 v110, 0xbbf7, v19
	v_add_f16_e32 v5, v5, v7
	v_add_f16_sdwa v7, v34, v9 dst_sel:DWORD dst_unused:UNUSED_PAD src0_sel:DWORD src1_sel:WORD_1
	v_fma_f16 v34, v22, 0x2de8, -v66
	v_add_f16_e32 v33, v36, v33
	v_fmamk_f16 v36, v23, 0x3722, v71
	v_mul_f16_sdwa v72, v24, v146 dst_sel:DWORD dst_unused:UNUSED_PAD src0_sel:WORD_1 src1_sel:DWORD
	v_fma_f16 v37, v128, 0x3722, -v84
	v_mul_f16_e32 v83, 0xba62, v24
	v_fma_f16 v38, v128, 0x2de8, -v110
	v_mul_f16_e32 v109, 0xb1e1, v24
	v_mul_f16_e32 v130, 0xbbb2, v19
	v_add_f16_e32 v7, v34, v7
	v_add_f16_e32 v34, v36, v9
	v_fmamk_f16 v36, v54, 0xb8d2, v72
	v_add_f16_sdwa v37, v37, v9 dst_sel:DWORD dst_unused:UNUSED_PAD src0_sel:DWORD src1_sel:WORD_1
	v_fma_f16 v39, v22, 0xb8d2, -v83
	v_add_f16_sdwa v38, v38, v9 dst_sel:DWORD dst_unused:UNUSED_PAD src0_sel:DWORD src1_sel:WORD_1
	v_fma_f16 v40, v22, 0xbbdd, -v109
	v_fma_f16 v61, v128, 0xb461, -v130
	v_mul_f16_e32 v131, 0x3836, v24
	v_add_f16_e32 v34, v36, v34
	v_add_f16_e32 v36, v39, v37
	v_add_f16_e32 v37, v40, v38
	v_add_f16_sdwa v38, v61, v9 dst_sel:DWORD dst_unused:UNUSED_PAD src0_sel:DWORD src1_sel:WORD_1
	v_fma_f16 v40, v22, 0xbacd, -v131
	v_mul_f16_sdwa v61, v25, v8 dst_sel:DWORD dst_unused:UNUSED_PAD src0_sel:WORD_1 src1_sel:DWORD
	v_lshrrev_b32_e32 v123, 16, v27
	v_mul_f16_e32 v118, 0x3bb2, v25
	v_mov_b32_e32 v39, 0x31e1
	v_add_f16_e32 v8, v40, v38
	v_fmamk_f16 v38, v27, 0x3722, v61
	v_mul_f16_e32 v87, 0x31e1, v25
	v_mul_f16_e32 v133, 0x3964, v25
	;; [unrolled: 1-line block ×3, first 2 shown]
	v_mul_f16_sdwa v78, v25, v39 dst_sel:DWORD dst_unused:UNUSED_PAD src0_sel:WORD_1 src1_sel:DWORD
	v_add_f16_e32 v33, v38, v33
	v_fma_f16 v38, v123, 0xb461, -v118
	v_fma_f16 v63, v123, 0xbbdd, -v87
	v_lshrrev_b32_e32 v122, 16, v28
	v_mul_f16_e32 v96, 0x3bb2, v26
	v_fma_f16 v39, v123, 0xb8d2, -v67
	v_add_f16_e32 v37, v38, v37
	v_fma_f16 v38, v123, 0x39e9, -v133
	v_fmamk_f16 v40, v27, 0xbbdd, v78
	v_add_f16_e32 v36, v63, v36
	v_mul_f16_e32 v70, 0xb1e1, v26
	v_mul_f16_sdwa v74, v26, v132 dst_sel:DWORD dst_unused:UNUSED_PAD src0_sel:WORD_1 src1_sel:DWORD
	v_add_f16_e32 v8, v38, v8
	v_fma_f16 v38, v122, 0xb461, -v96
	v_mul_f16_e32 v119, 0x35c8, v26
	v_add_f16_e32 v7, v39, v7
	v_add_f16_e32 v34, v40, v34
	v_mul_f16_sdwa v63, v26, v97 dst_sel:DWORD dst_unused:UNUSED_PAD src0_sel:WORD_1 src1_sel:DWORD
	v_fma_f16 v40, v122, 0xbbdd, -v70
	v_fmamk_f16 v68, v28, 0xb461, v74
	v_lshrrev_b32_e32 v125, 16, v35
	v_mul_f16_e32 v76, 0x3836, v32
	v_add_f16_e32 v36, v38, v36
	v_fma_f16 v38, v122, 0x3b76, -v119
	v_mul_f16_sdwa v79, v32, v113 dst_sel:DWORD dst_unused:UNUSED_PAD src0_sel:WORD_1 src1_sel:DWORD
	v_fmamk_f16 v39, v28, 0x2de8, v63
	v_add_f16_e32 v7, v40, v7
	v_add_f16_e32 v34, v68, v34
	v_mul_f16_e32 v134, 0xbb29, v26
	v_mul_f16_sdwa v68, v32, v81 dst_sel:DWORD dst_unused:UNUSED_PAD src0_sel:WORD_1 src1_sel:DWORD
	v_fma_f16 v73, v125, 0xbacd, -v76
	v_add_f16_e32 v37, v38, v37
	v_fmamk_f16 v38, v35, 0x39e9, v79
	v_mul_f16_e32 v98, 0x3964, v32
	v_add_f16_e32 v33, v39, v33
	v_fma_f16 v39, v122, 0x3722, -v134
	v_fmamk_f16 v40, v35, 0xb461, v68
	v_add_f16_e32 v7, v73, v7
	v_mul_f16_e32 v120, 0xbb29, v32
	v_mul_f16_sdwa v73, v41, v146 dst_sel:DWORD dst_unused:UNUSED_PAD src0_sel:WORD_1 src1_sel:DWORD
	v_add_f16_e32 v34, v38, v34
	v_fma_f16 v38, v125, 0x39e9, -v98
	v_lshrrev_b32_e32 v126, 16, v43
	v_mul_f16_e32 v82, 0x3bb2, v41
	v_add_f16_e32 v8, v39, v8
	v_add_f16_e32 v33, v40, v33
	v_mul_f16_e32 v138, 0xb1e1, v32
	v_fma_f16 v39, v125, 0x3722, -v120
	v_fmamk_f16 v77, v43, 0xb8d2, v73
	v_add_f16_e32 v36, v38, v36
	v_fma_f16 v38, v126, 0xb461, -v82
	v_mul_f16_sdwa v85, v41, v141 dst_sel:DWORD dst_unused:UNUSED_PAD src0_sel:WORD_1 src1_sel:DWORD
	v_mul_f16_e32 v106, 0xb5c8, v41
	v_fma_f16 v40, v125, 0xbbdd, -v138
	v_add_f16_e32 v37, v39, v37
	v_add_f16_e32 v33, v77, v33
	v_mul_f16_e32 v139, 0x3bf7, v41
	v_add_f16_e32 v7, v38, v7
	v_fmamk_f16 v38, v43, 0x3b76, v85
	v_fma_f16 v39, v126, 0x3b76, -v106
	v_mul_f16_sdwa v77, v42, v137 dst_sel:DWORD dst_unused:UNUSED_PAD src0_sel:WORD_1 src1_sel:DWORD
	v_add_f16_e32 v8, v40, v8
	v_mul_f16_e32 v121, 0xb836, v41
	v_fma_f16 v86, v126, 0x2de8, -v139
	v_add_f16_e32 v34, v38, v34
	v_add_f16_e32 v36, v39, v36
	v_fmamk_f16 v38, v45, 0xbacd, v77
	v_pk_mul_f16 v39, 0x3b7639e9, v23
	v_fma_f16 v40, v126, 0xbacd, -v121
	v_add_f16_e32 v8, v86, v8
	v_lshrrev_b32_e32 v127, 16, v45
	v_mul_f16_e32 v93, 0x3b29, v42
	v_mul_f16_sdwa v95, v42, v97 dst_sel:DWORD dst_unused:UNUSED_PAD src0_sel:WORD_1 src1_sel:DWORD
	v_add_f16_e32 v33, v38, v33
	v_pk_mul_f16 v38, 0xbbf7b964, v24
	v_pk_fma_f16 v86, 0xb964b5c8, v19, v39 op_sel:[0,0,1] op_sel_hi:[1,1,0]
	v_add_f16_e32 v37, v40, v37
	v_fma_f16 v40, v127, 0x3722, -v93
	v_fmamk_f16 v88, v45, 0x2de8, v95
	v_mul_f16_e32 v101, 0xbbf7, v42
	v_pk_fma_f16 v89, 0x2de839e9, v22, v38
	v_add_f16_sdwa v91, v86, v9 dst_sel:DWORD dst_unused:UNUSED_PAD src0_sel:WORD_1 src1_sel:DWORD
	v_pk_mul_f16 v103, 0x3722b8d2, v27
	v_mul_f16_e32 v142, 0xb5c8, v42
	v_add_f16_e32 v40, v40, v7
	v_fma_f16 v7, v127, 0x2de8, -v101
	v_add_f16_e32 v112, v88, v34
	v_add_f16_sdwa v34, v89, v91 dst_sel:DWORD dst_unused:UNUSED_PAD src0_sel:WORD_1 src1_sel:DWORD
	v_pk_fma_f16 v91, 0xba62bb29, v25, v103 op_sel:[0,0,1] op_sel_hi:[1,1,0]
	v_mul_f16_e32 v129, 0x3a62, v42
	v_fma_f16 v100, v127, 0x3b76, -v142
	v_mul_f16_sdwa v88, v44, v99 dst_sel:DWORD dst_unused:UNUSED_PAD src0_sel:WORD_1 src1_sel:DWORD
	v_pk_mul_f16 v108, 0x2de8bbdd, v28
	v_add_f16_e32 v36, v7, v36
	v_add_f16_sdwa v7, v91, v34 dst_sel:DWORD dst_unused:UNUSED_PAD src0_sel:WORD_1 src1_sel:DWORD
	v_fma_f16 v34, v127, 0xb8d2, -v129
	v_add_f16_e32 v148, v100, v8
	v_fmamk_f16 v8, v46, 0xbbdd, v88
	v_pk_fma_f16 v104, 0xb964b5c8, v19, v39 op_sel:[0,0,1] op_sel_hi:[1,1,0] neg_lo:[0,1,0] neg_hi:[0,1,0]
	v_pk_fma_f16 v92, 0xb1e1bbf7, v26, v108 op_sel:[0,0,1] op_sel_hi:[1,1,0]
	v_pk_mul_f16 v111, 0xb461bacd, v35
	v_add_f16_e32 v147, v34, v37
	v_add_f16_e32 v34, v8, v33
	v_pk_fma_f16 v105, 0x2de839e9, v22, v38 neg_lo:[0,0,1] neg_hi:[0,0,1]
	v_add_f16_sdwa v8, v104, v9 dst_sel:DWORD dst_unused:UNUSED_PAD src0_sel:DWORD src1_sel:WORD_1
	v_add_f16_sdwa v7, v92, v7 dst_sel:DWORD dst_unused:UNUSED_PAD src0_sel:WORD_1 src1_sel:DWORD
	v_pk_fma_f16 v94, 0x3836bbb2, v32, v111 op_sel:[0,0,1] op_sel_hi:[1,1,0]
	v_pk_mul_f16 v37, 0xb8d2b461, v43
	v_pk_fma_f16 v107, 0xba62bb29, v25, v103 op_sel:[0,0,1] op_sel_hi:[1,1,0] neg_lo:[0,1,0] neg_hi:[0,1,0]
	v_add_f16_e32 v8, v105, v8
	v_pk_mul_f16 v39, 0xbacd3722, v45
	v_add_f16_sdwa v7, v94, v7 dst_sel:DWORD dst_unused:UNUSED_PAD src0_sel:WORD_1 src1_sel:DWORD
	v_pk_fma_f16 v102, 0x3bb2ba62, v41, v37 op_sel:[0,0,1] op_sel_hi:[1,1,0]
	v_pk_fma_f16 v108, 0xb1e1bbf7, v26, v108 op_sel:[0,0,1] op_sel_hi:[1,1,0] neg_lo:[0,1,0] neg_hi:[0,1,0]
	v_add_f16_e32 v8, v107, v8
	v_pk_fma_f16 v100, 0x3b29b836, v42, v39 op_sel:[0,0,1] op_sel_hi:[1,1,0]
	v_mul_f16_sdwa v116, v44, v137 dst_sel:DWORD dst_unused:UNUSED_PAD src0_sel:WORD_1 src1_sel:DWORD
	v_add_f16_sdwa v7, v102, v7 dst_sel:DWORD dst_unused:UNUSED_PAD src0_sel:WORD_1 src1_sel:DWORD
	v_pk_fma_f16 v111, 0x3836bbb2, v32, v111 op_sel:[0,0,1] op_sel_hi:[1,1,0] neg_lo:[0,1,0] neg_hi:[0,1,0]
	v_add_f16_e32 v114, v108, v8
	v_pk_mul_f16 v33, 0xbbdd3b76, v46
	v_pk_fma_f16 v115, 0x3bb2ba62, v41, v37 op_sel:[0,0,1] op_sel_hi:[1,1,0] neg_lo:[0,1,0] neg_hi:[0,1,0]
	v_add_f16_sdwa v38, v100, v7 dst_sel:DWORD dst_unused:UNUSED_PAD src0_sel:WORD_1 src1_sel:DWORD
	v_fmamk_f16 v7, v46, 0xbacd, v116
	v_add_f16_e32 v37, v111, v114
	v_pk_fma_f16 v103, 0x35c8b1e1, v44, v33 op_sel:[0,0,1] op_sel_hi:[1,1,0]
	v_lshrrev_b32_e32 v135, 16, v46
	v_mul_f16_e32 v117, 0x35c8, v44
	v_add_f16_e32 v7, v7, v112
	v_mul_f16_e32 v124, 0xb836, v44
	v_mul_f16_e32 v136, 0x3964, v44
	;; [unrolled: 1-line block ×3, first 2 shown]
	v_pk_fma_f16 v112, 0x3b29b836, v42, v39 op_sel:[0,0,1] op_sel_hi:[1,1,0] neg_lo:[0,1,0] neg_hi:[0,1,0]
	v_add_f16_e32 v37, v115, v37
	v_add_f16_sdwa v8, v103, v38 dst_sel:DWORD dst_unused:UNUSED_PAD src0_sel:WORD_1 src1_sel:DWORD
	v_fma_f16 v38, v135, 0x3b76, -v117
	v_fma_f16 v39, v135, 0xbacd, -v124
	;; [unrolled: 1-line block ×4, first 2 shown]
	v_pk_fma_f16 v114, 0x35c8b1e1, v44, v33 op_sel:[0,0,1] op_sel_hi:[1,1,0] neg_lo:[0,1,0] neg_hi:[0,1,0]
	v_add_f16_e32 v33, v112, v37
	v_add_f16_e32 v37, v38, v40
	;; [unrolled: 1-line block ×6, first 2 shown]
	v_mul_lo_u16 v33, v31, 17
	s_barrier
	buffer_gl0_inv
	s_and_saveexec_b32 s4, vcc_lo
	s_cbranch_execz .LBB0_7
; %bb.6:
	v_mul_f16_e32 v147, 0xb8d2, v128
	v_mul_f16_e32 v148, 0xb461, v22
	v_mul_f16_sdwa v146, v19, v146 dst_sel:DWORD dst_unused:UNUSED_PAD src0_sel:WORD_1 src1_sel:DWORD
	v_mul_f16_sdwa v149, v24, v132 dst_sel:DWORD dst_unused:UNUSED_PAD src0_sel:WORD_1 src1_sel:DWORD
	v_mul_f16_e32 v150, 0x3b76, v123
	v_fmamk_f16 v132, v19, 0x3a62, v147
	v_fmamk_f16 v153, v24, 0xbbb2, v148
	v_fmamk_f16 v154, v23, 0xb8d2, v146
	v_mul_f16_sdwa v151, v25, v141 dst_sel:DWORD dst_unused:UNUSED_PAD src0_sel:WORD_1 src1_sel:DWORD
	v_mul_f16_e32 v152, 0xbacd, v122
	v_add_f16_sdwa v132, v132, v9 dst_sel:DWORD dst_unused:UNUSED_PAD src0_sel:DWORD src1_sel:WORD_1
	v_fmamk_f16 v156, v54, 0xb461, v149
	v_fmamk_f16 v157, v25, 0x35c8, v150
	v_add_f16_e32 v154, v154, v9
	v_mul_f16_sdwa v155, v26, v137 dst_sel:DWORD dst_unused:UNUSED_PAD src0_sel:WORD_1 src1_sel:DWORD
	v_add_f16_e32 v132, v153, v132
	v_mul_f16_e32 v153, 0x2de8, v125
	v_fmamk_f16 v158, v27, 0x3b76, v151
	v_fmamk_f16 v159, v26, 0x3836, v152
	v_add_f16_e32 v154, v156, v154
	v_add_f16_e32 v132, v157, v132
	v_mul_f16_sdwa v143, v32, v143 dst_sel:DWORD dst_unused:UNUSED_PAD src0_sel:WORD_1 src1_sel:DWORD
	v_fmamk_f16 v156, v28, 0xbacd, v155
	v_fmamk_f16 v157, v32, 0xbbf7, v153
	v_add_f16_e32 v154, v158, v154
	v_add_f16_e32 v132, v159, v132
	v_mul_f16_e32 v158, 0x39e9, v126
	v_mul_f16_sdwa v145, v41, v145 dst_sel:DWORD dst_unused:UNUSED_PAD src0_sel:WORD_1 src1_sel:DWORD
	v_fmamk_f16 v159, v35, 0x2de8, v143
	v_add_f16_e32 v154, v156, v154
	v_add_f16_e32 v132, v157, v132
	v_fmamk_f16 v156, v41, 0x3964, v158
	v_mul_f16_e32 v157, 0xbbdd, v127
	v_fmamk_f16 v160, v43, 0x39e9, v145
	v_add_f16_e32 v154, v159, v154
	v_mul_f16_sdwa v159, v42, v99 dst_sel:DWORD dst_unused:UNUSED_PAD src0_sel:WORD_1 src1_sel:DWORD
	v_add_f16_e32 v132, v156, v132
	v_fmamk_f16 v156, v42, 0x31e1, v157
	v_mul_f16_e32 v161, 0xbacd, v128
	v_add_f16_e32 v154, v160, v154
	v_mul_f16_e32 v160, 0x3722, v135
	v_mov_b32_e32 v162, 0x3b29
	v_add_f16_e32 v132, v156, v132
	v_fmamk_f16 v156, v45, 0xbbdd, v159
	v_fmamk_f16 v163, v19, 0x3836, v161
	v_mul_f16_e32 v164, 0x3722, v22
	v_mul_f16_sdwa v165, v44, v162 dst_sel:DWORD dst_unused:UNUSED_PAD src0_sel:WORD_1 src1_sel:DWORD
	v_mul_f16_e32 v167, 0x2de8, v123
	v_add_f16_e32 v154, v156, v154
	v_fmamk_f16 v156, v44, 0xbb29, v160
	v_add_f16_sdwa v163, v163, v9 dst_sel:DWORD dst_unused:UNUSED_PAD src0_sel:DWORD src1_sel:WORD_1
	v_fmamk_f16 v166, v24, 0xbb29, v164
	v_mul_f16_sdwa v168, v19, v137 dst_sel:DWORD dst_unused:UNUSED_PAD src0_sel:WORD_1 src1_sel:DWORD
	v_mul_f16_e32 v169, 0xb8d2, v122
	v_add_f16_e32 v132, v156, v132
	v_fmamk_f16 v156, v46, 0x3722, v165
	v_add_f16_e32 v163, v166, v163
	v_fmamk_f16 v166, v25, 0x3bf7, v167
	v_mul_f16_sdwa v171, v25, v97 dst_sel:DWORD dst_unused:UNUSED_PAD src0_sel:WORD_1 src1_sel:DWORD
	v_mul_f16_sdwa v140, v26, v140 dst_sel:DWORD dst_unused:UNUSED_PAD src0_sel:WORD_1 src1_sel:DWORD
	v_add_f16_e32 v137, v156, v154
	v_fmamk_f16 v154, v23, 0xbacd, v168
	v_mul_f16_sdwa v156, v24, v162 dst_sel:DWORD dst_unused:UNUSED_PAD src0_sel:WORD_1 src1_sel:DWORD
	v_add_f16_e32 v162, v166, v163
	v_fmamk_f16 v163, v26, 0xba62, v169
	v_mul_f16_e32 v166, 0x3b76, v125
	v_add_f16_e32 v154, v154, v9
	v_fmamk_f16 v170, v54, 0x3722, v156
	v_mul_f16_e32 v172, 0x39e9, v127
	;; [unrolled: 3-line block ×3, first 2 shown]
	v_add_f16_e32 v154, v170, v154
	v_fmamk_f16 v170, v27, 0x2de8, v171
	v_mul_f16_sdwa v141, v32, v141 dst_sel:DWORD dst_unused:UNUSED_PAD src0_sel:WORD_1 src1_sel:DWORD
	v_add_f16_e32 v97, v162, v97
	v_fmamk_f16 v162, v41, 0x31e1, v163
	v_mul_f16_e32 v173, 0xb461, v135
	v_add_f16_e32 v154, v170, v154
	v_fmamk_f16 v170, v28, 0xb8d2, v140
	v_mul_f16_sdwa v99, v41, v99 dst_sel:DWORD dst_unused:UNUSED_PAD src0_sel:WORD_1 src1_sel:DWORD
	v_add_f16_e32 v97, v162, v97
	v_fmamk_f16 v162, v42, 0xb964, v172
	v_fmac_f16_e32 v161, 0xb836, v19
	v_add_f16_e32 v154, v170, v154
	v_fmamk_f16 v170, v35, 0x3b76, v141
	v_fmac_f16_e32 v164, 0x3b29, v24
	v_add_f16_e32 v97, v162, v97
	v_fmamk_f16 v162, v44, 0x3bb2, v173
	v_add_f16_sdwa v161, v161, v9 dst_sel:DWORD dst_unused:UNUSED_PAD src0_sel:DWORD src1_sel:WORD_1
	v_add_f16_e32 v154, v170, v154
	v_fmamk_f16 v170, v43, 0xbbdd, v99
	v_mul_f16_sdwa v113, v42, v113 dst_sel:DWORD dst_unused:UNUSED_PAD src0_sel:WORD_1 src1_sel:DWORD
	v_add_f16_e32 v97, v162, v97
	v_fma_f16 v162, v23, 0xbacd, -v168
	v_add_f16_e32 v161, v164, v161
	v_add_f16_e32 v154, v170, v154
	v_fmamk_f16 v164, v45, 0x39e9, v113
	v_mul_f16_sdwa v168, v44, v81 dst_sel:DWORD dst_unused:UNUSED_PAD src0_sel:WORD_1 src1_sel:DWORD
	v_add_f16_e32 v81, v162, v9
	v_fma_f16 v156, v54, 0x3722, -v156
	v_fma_f16 v140, v28, 0xb8d2, -v140
	v_add_f16_e32 v154, v164, v154
	v_fmamk_f16 v162, v46, 0xb461, v168
	v_fma_f16 v164, v27, 0x2de8, -v171
	v_add_f16_e32 v156, v156, v81
	v_fma_f16 v141, v35, 0x3b76, -v141
	v_fma_f16 v99, v43, 0xbbdd, -v99
	v_add_f16_e32 v81, v162, v154
	v_fma_f16 v146, v23, 0xb8d2, -v146
	v_add_f16_e32 v154, v164, v156
	v_fma_f16 v113, v45, 0x39e9, -v113
	v_fmac_f16_e32 v147, 0xba62, v19
	v_fmac_f16_e32 v148, 0x3bb2, v24
	;; [unrolled: 1-line block ×3, first 2 shown]
	v_add_f16_e32 v140, v140, v154
	v_fma_f16 v145, v43, 0x39e9, -v145
	v_add_f16_sdwa v147, v147, v9 dst_sel:DWORD dst_unused:UNUSED_PAD src0_sel:DWORD src1_sel:WORD_1
	v_fmac_f16_e32 v152, 0xb836, v26
	v_fmac_f16_e32 v153, 0x3bf7, v32
	v_add_f16_e32 v140, v141, v140
	v_alignbit_b32 v49, v49, v49, 16
	v_add_f16_e32 v147, v148, v147
	v_mul_f16_e32 v148, 0xb461, v128
	v_fmac_f16_e32 v167, 0xbbf7, v25
	v_add_f16_e32 v99, v99, v140
	v_add_f16_e32 v140, v146, v9
	v_fma_f16 v146, v54, 0xb461, -v149
	v_add_f16_e32 v130, v130, v148
	v_mul_f16_e32 v148, 0xbacd, v22
	v_add_f16_e32 v99, v113, v99
	v_add_f16_e32 v147, v150, v147
	;; [unrolled: 1-line block ×3, first 2 shown]
	v_fma_f16 v140, v27, 0x3b76, -v151
	v_fma_f16 v150, v45, 0xbbdd, -v159
	v_add_f16_sdwa v130, v130, v9 dst_sel:DWORD dst_unused:UNUSED_PAD src0_sel:DWORD src1_sel:WORD_1
	v_add_f16_e32 v131, v131, v148
	v_fma_f16 v151, v46, 0x3722, -v165
	v_add_f16_e32 v113, v140, v113
	v_fma_f16 v140, v28, 0xbacd, -v155
	v_mul_f16_e32 v148, 0x2de8, v23
	v_add_f16_e32 v130, v131, v130
	v_mul_f16_e32 v131, 0xb461, v23
	v_add_f16_e32 v147, v152, v147
	v_add_f16_e32 v113, v140, v113
	v_fma_f16 v140, v35, 0x2de8, -v143
	v_sub_f16_e32 v47, v148, v47
	v_sub_f16_e32 v53, v131, v53
	v_mul_f16_e32 v131, 0x39e9, v54
	v_add_f16_e32 v146, v153, v147
	v_add_f16_e32 v113, v140, v113
	v_mul_f16_e32 v140, 0x39e9, v128
	v_add_f16_e32 v53, v53, v9
	v_add_f16_e32 v47, v47, v9
	v_fma_f16 v147, v46, 0xb461, -v168
	v_add_f16_e32 v113, v145, v113
	v_mul_f16_e32 v145, 0x3722, v128
	v_mul_f16_e32 v128, 0x2de8, v128
	;; [unrolled: 1-line block ×3, first 2 shown]
	v_add_f16_e32 v99, v147, v99
	v_add_f16_e32 v113, v150, v113
	v_mul_f16_e32 v150, 0x39e9, v123
	v_add_f16_e32 v110, v110, v128
	v_alignbit_b32 v147, v9, v9, 16
	v_add_f16_e32 v84, v84, v145
	v_add_f16_e32 v113, v151, v113
	v_add_f16_e32 v133, v133, v150
	v_mul_f16_e32 v150, 0xbacd, v54
	v_mul_f16_e32 v151, 0x3722, v122
	v_add_f16_sdwa v110, v110, v9 dst_sel:DWORD dst_unused:UNUSED_PAD src0_sel:DWORD src1_sel:WORD_1
	v_add_f16_sdwa v84, v84, v9 dst_sel:DWORD dst_unused:UNUSED_PAD src0_sel:DWORD src1_sel:WORD_1
	v_add_f16_e32 v130, v133, v130
	v_sub_f16_e32 v58, v150, v58
	v_mul_f16_e32 v133, 0x39e9, v27
	v_add_f16_e32 v134, v134, v151
	v_mul_f16_e32 v151, 0xb8d2, v54
	v_mul_f16_e32 v54, 0xbbdd, v54
	v_add_f16_e32 v53, v58, v53
	v_mul_f16_e32 v58, 0xbbdd, v125
	v_sub_f16_e32 v60, v133, v60
	v_add_f16_e32 v130, v134, v130
	v_mul_f16_e32 v134, 0x3722, v28
	v_sub_f16_e32 v48, v54, v48
	v_add_f16_e32 v58, v138, v58
	v_add_f16_e32 v53, v60, v53
	v_mul_f16_e32 v60, 0x2de8, v126
	v_sub_f16_e32 v65, v134, v65
	v_mul_f16_e32 v138, 0xbbdd, v22
	v_add_f16_e32 v58, v58, v130
	v_mul_f16_e32 v130, 0xbbdd, v35
	v_add_f16_e32 v60, v139, v60
	v_add_f16_e32 v53, v65, v53
	v_mul_f16_e32 v65, 0x3b76, v127
	v_mul_f16_e32 v139, 0xb8d2, v123
	v_sub_f16_e32 v69, v130, v69
	v_add_f16_e32 v58, v60, v58
	v_mul_f16_e32 v60, 0x2de8, v43
	v_add_f16_e32 v65, v142, v65
	v_mul_f16_e32 v142, 0xbbdd, v123
	;; [unrolled: 2-line block ×3, first 2 shown]
	v_sub_f16_e32 v60, v60, v75
	v_mul_f16_e32 v75, 0xb461, v27
	v_mul_f16_e32 v123, 0xb461, v123
	v_add_f16_e32 v109, v109, v138
	v_add_f16_e32 v69, v144, v69
	v_mul_f16_e32 v144, 0x3b76, v45
	v_add_f16_e32 v53, v60, v53
	v_mul_f16_e32 v60, 0xbbdd, v122
	v_mul_f16_e32 v138, 0x3b76, v28
	v_add_f16_e32 v109, v109, v110
	v_sub_f16_e32 v80, v144, v80
	v_mul_f16_e32 v144, 0xb461, v122
	v_mul_f16_e32 v122, 0x3b76, v122
	v_add_f16_e32 v118, v118, v123
	v_add_f16_e32 v47, v48, v47
	v_sub_f16_e32 v50, v75, v50
	v_sub_f16_e32 v51, v138, v51
	v_add_f16_e32 v119, v119, v122
	v_add_f16_e32 v109, v118, v109
	v_mul_f16_e32 v118, 0x3722, v35
	v_add_f16_e32 v47, v50, v47
	v_mul_f16_e32 v133, 0xb8d2, v22
	v_mul_f16_e32 v50, 0xb8d2, v45
	v_add_f16_e32 v109, v119, v109
	v_mul_f16_e32 v119, 0xbacd, v43
	v_add_f16_e32 v47, v51, v47
	v_sub_f16_e32 v52, v118, v52
	v_add_f16_e32 v83, v83, v133
	v_sub_f16_e32 v50, v50, v59
	v_pk_add_f16 v10, v10, v147 op_sel:[0,1] op_sel_hi:[1,0]
	v_mul_f16_e32 v130, 0xbbdd, v27
	v_add_f16_e32 v47, v52, v47
	v_sub_f16_e32 v52, v119, v56
	v_mul_f16_e32 v110, 0xb8d2, v46
	v_add_f16_e32 v83, v83, v84
	v_add_f16_e32 v84, v87, v142
	v_pk_add_f16 v10, v49, v10
	v_add_f16_e32 v47, v52, v47
	v_sub_f16_e32 v52, v149, v71
	v_mul_f16_e32 v128, 0xb461, v28
	v_add_f16_e32 v53, v80, v53
	v_sub_f16_e32 v90, v110, v90
	v_add_f16_e32 v47, v50, v47
	v_add_f16_e32 v50, v52, v9
	v_sub_f16_e32 v52, v151, v72
	v_mul_f16_e32 v110, 0x39e9, v125
	v_add_f16_e32 v83, v84, v83
	v_add_f16_e32 v84, v96, v144
	v_pk_add_f16 v10, v20, v10
	v_add_f16_e32 v50, v52, v50
	v_sub_f16_e32 v52, v130, v78
	v_mul_f16_e32 v80, 0x39e9, v35
	v_add_f16_e32 v53, v90, v53
	v_mul_f16_e32 v90, 0x3b76, v126
	v_mul_f16_e32 v51, 0x39e9, v46
	v_add_f16_e32 v59, v84, v83
	v_add_f16_e32 v71, v98, v110
	;; [unrolled: 1-line block ×3, first 2 shown]
	v_sub_f16_e32 v52, v128, v74
	v_pk_add_f16 v10, v17, v10
	v_mul_f16_e32 v150, 0x2de8, v22
	v_mul_f16_e32 v54, 0x3b76, v43
	v_sub_f16_e32 v51, v51, v62
	v_add_f16_e32 v59, v71, v59
	v_add_f16_e32 v62, v106, v90
	;; [unrolled: 1-line block ×4, first 2 shown]
	v_sub_f16_e32 v50, v80, v79
	v_pk_add_f16 v10, v18, v10
	v_mul_f16_e32 v143, 0x3b76, v23
	v_add_f16_e32 v47, v51, v47
	v_add_f16_e32 v51, v62, v59
	v_add_f16_sdwa v59, v64, v9 dst_sel:DWORD dst_unused:UNUSED_PAD src0_sel:DWORD src1_sel:WORD_1
	v_add_f16_e32 v62, v66, v150
	v_add_f16_e32 v49, v50, v49
	v_sub_f16_e32 v50, v54, v85
	v_pk_add_f16 v10, v15, v10
	v_mul_f16_e32 v134, 0x3722, v27
	v_add_f16_e32 v59, v62, v59
	v_add_f16_e32 v62, v67, v139
	;; [unrolled: 1-line block ×3, first 2 shown]
	v_sub_f16_e32 v50, v143, v55
	v_pk_add_f16 v10, v16, v10
	v_mul_f16_e32 v123, 0xbacd, v125
	v_mul_f16_e32 v125, 0x3722, v125
	v_add_f16_e32 v52, v62, v59
	v_add_f16_e32 v20, v70, v60
	v_add_f16_e32 v9, v50, v9
	v_sub_f16_e32 v15, v131, v57
	v_pk_add_f16 v10, v13, v10
	v_add_f16_e32 v58, v65, v58
	v_mul_f16_e32 v65, 0x2de8, v28
	v_mul_f16_e32 v122, 0xb461, v126
	;; [unrolled: 1-line block ×3, first 2 shown]
	v_add_f16_e32 v120, v120, v125
	v_mul_f16_e32 v125, 0x2de8, v45
	v_add_f16_e32 v17, v20, v52
	v_add_f16_e32 v20, v76, v123
	;; [unrolled: 1-line block ×3, first 2 shown]
	v_sub_f16_e32 v15, v134, v61
	v_pk_add_f16 v10, v14, v10
	v_add_f16_e32 v58, v69, v58
	v_mul_f16_e32 v69, 0xb461, v35
	v_mul_f16_e32 v75, 0x3722, v127
	v_add_f16_e32 v121, v121, v126
	v_mul_f16_e32 v126, 0xbacd, v46
	v_sub_f16_e32 v18, v125, v95
	v_add_f16_e32 v17, v20, v17
	v_add_f16_e32 v20, v82, v122
	v_add_f16_e32 v9, v15, v9
	v_sub_f16_e32 v15, v65, v63
	v_pk_add_f16 v10, v11, v10
	v_mul_f16_e32 v148, 0xb8d2, v43
	v_add_f16_e32 v109, v120, v109
	v_mul_f16_e32 v120, 0x3b76, v135
	v_add_f16_e32 v18, v18, v49
	v_add_f16_e32 v17, v20, v17
	;; [unrolled: 1-line block ×3, first 2 shown]
	v_sub_f16_e32 v16, v126, v116
	v_add_f16_e32 v9, v15, v9
	v_sub_f16_e32 v15, v69, v68
	v_bfi_b32 v11, 0xffff, v86, v104
	v_pk_add_f16 v10, v12, v10
	v_mul_f16_e32 v48, 0xbacd, v45
	v_add_f16_e32 v17, v20, v17
	v_add_f16_e32 v13, v117, v120
	;; [unrolled: 1-line block ×3, first 2 shown]
	v_bfi_b32 v16, 0xffff, v89, v105
	v_add_f16_e32 v9, v15, v9
	v_sub_f16_e32 v12, v148, v73
	v_pk_add_f16 v2, v2, v10
	v_pk_add_f16 v10, v11, v147
	v_mul_f16_e32 v138, 0xbbdd, v46
	v_add_f16_e32 v13, v13, v17
	v_bfi_b32 v17, 0xffff, v91, v107
	v_add_f16_e32 v9, v12, v9
	v_sub_f16_e32 v11, v48, v77
	v_pk_add_f16 v2, v3, v2
	v_pk_add_f16 v10, v16, v10
	v_bfi_b32 v15, 0xffff, v92, v108
	v_pk_mul_f16 v16, 0xbbdd, v23 op_sel_hi:[0,1]
	v_add_f16_e32 v9, v11, v9
	v_sub_f16_e32 v11, v138, v88
	v_pk_add_f16 v0, v0, v2
	v_mov_b32_e32 v2, 2
	v_pk_add_f16 v10, v17, v10
	v_bfi_b32 v18, 0xffff, v94, v111
	v_add_f16_e32 v9, v11, v9
	v_pk_add_f16 v0, v1, v0
	v_lshlrev_b32_sdwa v1, v2, v33 dst_sel:DWORD dst_unused:UNUSED_PAD src0_sel:DWORD src1_sel:WORD_0
	v_pk_add_f16 v2, v15, v10
	v_pk_fma_f16 v10, 0xb1e1, v19, v16 op_sel:[0,0,1] op_sel_hi:[0,1,0] neg_lo:[0,1,0] neg_hi:[0,1,0]
	v_pk_mul_f16 v11, 0x35c8, v24 op_sel_hi:[0,1]
	v_pk_fma_f16 v15, 0xb1e1, v19, v16 op_sel:[0,0,1] op_sel_hi:[0,1,0]
	v_bfi_b32 v49, 0xffff, v102, v115
	v_pk_add_f16 v2, v18, v2
	v_pk_add_f16 v10, v10, v147
	v_pk_fma_f16 v16, 0x3b76, v22, v11 op_sel_hi:[0,1,1] neg_lo:[0,0,1] neg_hi:[0,0,1]
	v_pk_mul_f16 v17, 0xbacd, v27 op_sel_hi:[0,1]
	v_pk_add_f16 v15, v15, v147
	v_pk_fma_f16 v11, 0x3b76, v22, v11 op_sel_hi:[0,1,1]
	v_bfi_b32 v12, 0xffff, v100, v112
	v_pk_add_f16 v2, v49, v2
	v_pk_add_f16 v10, v16, v10
	v_pk_fma_f16 v16, 0xb836, v25, v17 op_sel:[0,0,1] op_sel_hi:[0,1,0] neg_lo:[0,1,0] neg_hi:[0,1,0]
	v_pk_mul_f16 v18, 0x39e9, v28 op_sel_hi:[0,1]
	v_pk_add_f16 v11, v11, v15
	v_pk_fma_f16 v15, 0xb836, v25, v17 op_sel:[0,0,1] op_sel_hi:[0,1,0]
	v_add_f16_e32 v161, v167, v161
	v_fmac_f16_e32 v169, 0x3a62, v26
	v_bfi_b32 v3, 0xffff, v103, v114
	v_pk_add_f16 v2, v12, v2
	v_pk_add_f16 v10, v16, v10
	v_pk_fma_f16 v12, 0x3964, v26, v18 op_sel:[0,0,1] op_sel_hi:[0,1,0] neg_lo:[0,1,0] neg_hi:[0,1,0]
	v_pk_mul_f16 v16, 0xb8d2, v35 op_sel_hi:[0,1]
	v_pk_add_f16 v11, v15, v11
	v_pk_fma_f16 v15, 0x3964, v26, v18 op_sel:[0,0,1] op_sel_hi:[0,1,0]
	v_add_f16_e32 v161, v169, v161
	v_fmac_f16_e32 v166, 0xb5c8, v32
	v_pk_add_f16 v2, v3, v2
	v_pk_add_f16 v3, v12, v10
	v_pk_fma_f16 v10, 0xba62, v32, v16 op_sel:[0,0,1] op_sel_hi:[0,1,0] neg_lo:[0,1,0] neg_hi:[0,1,0]
	v_pk_mul_f16 v12, 0x3722, v43 op_sel_hi:[0,1]
	v_pk_add_f16 v11, v15, v11
	v_pk_fma_f16 v15, 0xba62, v32, v16 op_sel:[0,0,1] op_sel_hi:[0,1,0]
	v_mul_f16_e32 v145, 0x2de8, v127
	v_mul_f16_e32 v127, 0xb8d2, v127
	v_fmac_f16_e32 v158, 0xb964, v41
	v_add_f16_e32 v156, v166, v161
	v_fmac_f16_e32 v163, 0xb1e1, v41
	v_pk_add_f16 v3, v10, v3
	v_pk_fma_f16 v10, 0x3b29, v41, v12 op_sel:[0,0,1] op_sel_hi:[0,1,0] neg_lo:[0,1,0] neg_hi:[0,1,0]
	v_pk_mul_f16 v16, 0xb461, v45 op_sel_hi:[0,1]
	v_pk_add_f16 v11, v15, v11
	v_pk_fma_f16 v12, 0x3b29, v41, v12 op_sel:[0,0,1] op_sel_hi:[0,1,0]
	v_mul_f16_e32 v133, 0xbacd, v135
	v_mul_f16_e32 v135, 0x39e9, v135
	v_add_f16_e32 v109, v121, v109
	v_add_f16_e32 v118, v129, v127
	;; [unrolled: 1-line block ×4, first 2 shown]
	v_fmac_f16_e32 v157, 0xb1e1, v42
	v_add_f16_e32 v154, v163, v156
	v_fmac_f16_e32 v172, 0x3964, v42
	v_alignbit_b32 v13, v13, v2, 16
	v_pack_b32_f16 v2, v9, v2
	v_pk_add_f16 v3, v10, v3
	v_pk_fma_f16 v9, 0xbbb2, v42, v16 op_sel:[0,0,1] op_sel_hi:[0,1,0] neg_lo:[0,1,0] neg_hi:[0,1,0]
	v_pk_mul_f16 v10, 0x2de8, v46 op_sel_hi:[0,1]
	v_pk_add_f16 v11, v12, v11
	v_pk_fma_f16 v12, 0xbbb2, v42, v16 op_sel:[0,0,1] op_sel_hi:[0,1,0]
	v_add_f16_e32 v56, v118, v109
	v_add_f16_e32 v87, v136, v135
	;; [unrolled: 1-line block ×5, first 2 shown]
	v_fmac_f16_e32 v160, 0x3b29, v44
	v_add_f16_e32 v141, v172, v154
	v_fmac_f16_e32 v173, 0xbbb2, v44
	v_pk_add_f16 v3, v9, v3
	v_pk_fma_f16 v9, 0x3bf7, v44, v10 op_sel:[0,0,1] op_sel_hi:[0,1,0] neg_lo:[0,1,0] neg_hi:[0,1,0]
	v_pk_add_f16 v11, v12, v11
	v_pk_fma_f16 v10, 0x3bf7, v44, v10 op_sel:[0,0,1] op_sel_hi:[0,1,0]
	v_add_f16_e32 v56, v87, v56
	v_add_f16_e32 v20, v54, v51
	v_add_f16_e32 v146, v160, v146
	v_add_f16_e32 v141, v173, v141
	v_pk_add_f16 v3, v9, v3
	v_pk_add_f16 v9, v10, v11
	v_pack_b32_f16 v15, v47, v56
	v_pack_b32_f16 v14, v14, v20
	;; [unrolled: 1-line block ×4, first 2 shown]
	v_pk_add_f16 v0, v21, v0
	v_pack_b32_f16 v17, v99, v141
	ds_write2_b32 v1, v2, v13 offset0:1 offset1:2
	ds_write2_b32 v1, v14, v15 offset0:3 offset1:4
	;; [unrolled: 1-line block ×3, first 2 shown]
	ds_write2_b32 v1, v0, v17 offset1:7
	v_alignbit_b32 v0, v3, v9, 16
	v_alignbit_b32 v2, v9, v3, 16
	v_pack_b32_f16 v3, v137, v132
	v_pack_b32_f16 v9, v81, v97
	v_perm_b32 v10, v39, v6, 0x5040100
	v_perm_b32 v11, v40, v5, 0x5040100
	;; [unrolled: 1-line block ×5, first 2 shown]
	ds_write2_b32 v1, v2, v0 offset0:8 offset1:9
	ds_write2_b32 v1, v9, v3 offset0:10 offset1:11
	;; [unrolled: 1-line block ×4, first 2 shown]
	ds_write_b32 v1, v14 offset:64
.LBB0_7:
	s_or_b32 exec_lo, exec_lo, s4
	v_and_b32_e32 v0, 0xff, v31
	v_add_nc_u16 v1, v31, 51
	v_add_nc_u16 v2, v31, 0x66
	s_load_dwordx4 s[4:7], s[2:3], 0x0
	s_waitcnt lgkmcnt(0)
	v_mul_lo_u16 v0, 0xf1, v0
	v_and_b32_e32 v3, 0xff, v1
	v_and_b32_e32 v9, 0xff, v2
	s_barrier
	buffer_gl0_inv
	v_lshrrev_b16 v27, 12, v0
	v_add_nc_u16 v0, v31, 0x99
	v_mul_lo_u16 v3, 0xf1, v3
	v_mul_lo_u16 v9, 0xf1, v9
	v_mov_b32_e32 v44, 2
	v_mul_lo_u16 v10, v27, 17
	v_and_b32_e32 v11, 0xff, v0
	v_lshrrev_b16 v28, 12, v3
	v_lshrrev_b16 v41, 12, v9
	v_lshlrev_b32_sdwa v35, v44, v31 dst_sel:DWORD dst_unused:UNUSED_PAD src0_sel:DWORD src1_sel:WORD_0
	v_sub_nc_u16 v32, v31, v10
	v_mul_lo_u16 v3, 0xf1, v11
	v_mul_lo_u16 v9, v28, 17
	v_mov_b32_e32 v47, 51
	v_add_nc_u32_e32 v64, 0x400, v35
	v_lshlrev_b16 v10, 1, v32
	v_lshrrev_b16 v42, 12, v3
	v_mul_lo_u16 v3, v41, 17
	v_sub_nc_u16 v1, v1, v9
	v_add_nc_u32_e32 v65, 0x600, v35
	v_and_b32_e32 v9, 0xfe, v10
	v_mul_lo_u16 v10, v42, 17
	v_sub_nc_u16 v2, v2, v3
	v_and_b32_e32 v43, 0xff, v1
	v_mad_u16 v27, v27, 51, v32
	v_lshlrev_b32_e32 v1, 2, v9
	v_sub_nc_u16 v0, v0, v10
	v_and_b32_e32 v45, 0xff, v2
	v_lshlrev_b32_e32 v2, 3, v43
	v_mul_u32_u24_sdwa v28, v28, v47 dst_sel:DWORD dst_unused:UNUSED_PAD src0_sel:WORD_0 src1_sel:DWORD
	global_load_dwordx2 v[15:16], v1, s[0:1]
	v_and_b32_e32 v46, 0xff, v0
	v_lshlrev_b32_e32 v0, 3, v45
	global_load_dwordx2 v[13:14], v2, s[0:1]
	v_mul_u32_u24_sdwa v41, v41, v47 dst_sel:DWORD dst_unused:UNUSED_PAD src0_sel:WORD_0 src1_sel:DWORD
	v_mul_u32_u24_sdwa v47, v42, v47 dst_sel:DWORD dst_unused:UNUSED_PAD src0_sel:WORD_0 src1_sel:DWORD
	v_lshlrev_b32_e32 v1, 3, v46
	v_lshlrev_b32_sdwa v44, v44, v27 dst_sel:DWORD dst_unused:UNUSED_PAD src0_sel:DWORD src1_sel:BYTE_0
	v_add_lshl_u32 v43, v28, v43, 2
	s_clause 0x1
	global_load_dwordx2 v[11:12], v0, s[0:1]
	global_load_dwordx2 v[9:10], v1, s[0:1]
	ds_read2_b32 v[0:1], v35 offset1:51
	ds_read2_b32 v[2:3], v35 offset0:204 offset1:255
	ds_read2_b32 v[17:18], v35 offset0:102 offset1:153
	;; [unrolled: 1-line block ×5, first 2 shown]
	v_add_lshl_u32 v42, v41, v45, 2
	v_add_lshl_u32 v41, v47, v46, 2
	v_mad_u64_u32 v[25:26], null, v31, 20, s[0:1]
	s_waitcnt vmcnt(0) lgkmcnt(0)
	s_barrier
	buffer_gl0_inv
	v_lshrrev_b32_e32 v32, 16, v0
	v_lshrrev_b32_e32 v48, 16, v2
	;; [unrolled: 1-line block ×12, first 2 shown]
	v_mul_f16_sdwa v28, v48, v15 dst_sel:DWORD dst_unused:UNUSED_PAD src0_sel:DWORD src1_sel:WORD_1
	v_mul_f16_sdwa v45, v2, v15 dst_sel:DWORD dst_unused:UNUSED_PAD src0_sel:DWORD src1_sel:WORD_1
	;; [unrolled: 1-line block ×8, first 2 shown]
	v_fma_f16 v2, v2, v15, -v28
	v_mul_f16_sdwa v62, v54, v11 dst_sel:DWORD dst_unused:UNUSED_PAD src0_sel:DWORD src1_sel:WORD_1
	v_mul_f16_sdwa v63, v21, v11 dst_sel:DWORD dst_unused:UNUSED_PAD src0_sel:DWORD src1_sel:WORD_1
	;; [unrolled: 1-line block ×8, first 2 shown]
	v_fmac_f16_e32 v45, v48, v15
	v_fma_f16 v19, v19, v16, -v46
	v_fmac_f16_e32 v47, v27, v16
	v_fma_f16 v3, v3, v13, -v58
	;; [unrolled: 2-line block ×7, first 2 shown]
	v_fmac_f16_e32 v71, v57, v10
	v_add_f16_e32 v28, v2, v19
	v_sub_f16_e32 v46, v45, v47
	v_add_f16_e32 v48, v32, v45
	v_add_f16_e32 v45, v45, v47
	;; [unrolled: 1-line block ×7, first 2 shown]
	v_sub_f16_e32 v2, v2, v19
	v_sub_f16_e32 v54, v59, v61
	v_add_f16_e32 v55, v49, v59
	v_add_f16_e32 v57, v17, v21
	v_sub_f16_e32 v59, v63, v67
	v_add_f16_e32 v60, v51, v63
	v_add_f16_e32 v63, v18, v22
	;; [unrolled: 1-line block ×3, first 2 shown]
	v_sub_f16_e32 v68, v69, v71
	v_add_f16_e32 v70, v52, v69
	v_add_f16_e32 v69, v69, v71
	v_fma_f16 v0, -0.5, v28, v0
	v_fmac_f16_e32 v32, -0.5, v45
	v_add_f16_e32 v50, v1, v3
	v_sub_f16_e32 v3, v3, v20
	v_fmac_f16_e32 v1, -0.5, v53
	v_fmac_f16_e32 v49, -0.5, v56
	v_sub_f16_e32 v21, v21, v23
	v_fma_f16 v17, -0.5, v58, v17
	v_fmac_f16_e32 v51, -0.5, v62
	v_sub_f16_e32 v22, v22, v24
	v_add_f16_e32 v19, v27, v19
	v_add_f16_e32 v27, v48, v47
	;; [unrolled: 1-line block ×5, first 2 shown]
	v_fmac_f16_e32 v18, -0.5, v66
	v_add_f16_e32 v47, v70, v71
	v_fmac_f16_e32 v52, -0.5, v69
	v_fmamk_f16 v48, v46, 0x3aee, v0
	v_fmac_f16_e32 v0, 0xbaee, v46
	v_fmamk_f16 v46, v2, 0xbaee, v32
	v_fmac_f16_e32 v32, 0x3aee, v2
	v_add_f16_e32 v20, v50, v20
	v_add_f16_e32 v28, v55, v61
	v_fmamk_f16 v2, v54, 0x3aee, v1
	v_fmamk_f16 v50, v3, 0xbaee, v49
	v_fmac_f16_e32 v1, 0xbaee, v54
	v_fmac_f16_e32 v49, 0x3aee, v3
	v_fmamk_f16 v3, v59, 0x3aee, v17
	v_fmamk_f16 v53, v21, 0xbaee, v51
	v_fmac_f16_e32 v17, 0xbaee, v59
	v_fmac_f16_e32 v51, 0x3aee, v21
	v_fmamk_f16 v21, v68, 0x3aee, v18
	v_fmac_f16_e32 v18, 0xbaee, v68
	v_fmamk_f16 v54, v22, 0xbaee, v52
	v_fmac_f16_e32 v52, 0x3aee, v22
	v_pack_b32_f16 v19, v19, v27
	v_pack_b32_f16 v22, v23, v45
	;; [unrolled: 1-line block ×12, first 2 shown]
	ds_write2_b32 v44, v19, v24 offset1:17
	ds_write_b32 v44, v0 offset:136
	ds_write2_b32 v43, v20, v2 offset1:17
	ds_write_b32 v43, v1 offset:136
	;; [unrolled: 2-line block ×4, first 2 shown]
	s_waitcnt lgkmcnt(0)
	s_barrier
	buffer_gl0_inv
	s_clause 0x1
	global_load_dwordx4 v[0:3], v[25:26], off offset:136
	global_load_dword v45, v[25:26], off offset:152
	ds_read2_b32 v[17:18], v35 offset1:51
	ds_read2_b32 v[19:20], v35 offset0:102 offset1:153
	ds_read2_b32 v[21:22], v35 offset0:204 offset1:255
	;; [unrolled: 1-line block ×5, first 2 shown]
	v_lshlrev_b32_e32 v32, 4, v31
	s_waitcnt vmcnt(0) lgkmcnt(0)
	s_barrier
	buffer_gl0_inv
	v_sub_co_u32 v25, s0, v25, v32
	v_subrev_co_ci_u32_e64 v26, s0, 0, v26, s0
	v_lshrrev_b32_e32 v32, 16, v17
	v_lshrrev_b32_e32 v48, 16, v19
	;; [unrolled: 1-line block ×12, first 2 shown]
	v_mul_f16_sdwa v61, v49, v1 dst_sel:DWORD dst_unused:UNUSED_PAD src0_sel:DWORD src1_sel:WORD_1
	v_mul_f16_sdwa v62, v21, v1 dst_sel:DWORD dst_unused:UNUSED_PAD src0_sel:DWORD src1_sel:WORD_1
	;; [unrolled: 1-line block ×19, first 2 shown]
	v_fma_f16 v21, v21, v1, -v61
	v_fmac_f16_e32 v62, v49, v1
	v_fma_f16 v23, v23, v2, -v63
	v_fmac_f16_e32 v66, v50, v2
	;; [unrolled: 2-line block ×4, first 2 shown]
	v_mul_f16_sdwa v77, v57, v3 dst_sel:DWORD dst_unused:UNUSED_PAD src0_sel:DWORD src1_sel:WORD_1
	v_fma_f16 v19, v19, v0, -v59
	v_fmac_f16_e32 v60, v48, v0
	v_fmac_f16_e32 v74, v55, v1
	v_fma_f16 v24, v24, v2, -v75
	v_fmac_f16_e32 v76, v56, v2
	v_fmac_f16_e32 v78, v57, v3
	v_fma_f16 v47, v47, v45, -v79
	v_fmac_f16_e32 v80, v58, v45
	v_fma_f16 v20, v20, v0, -v71
	;; [unrolled: 2-line block ×3, first 2 shown]
	v_add_f16_e32 v49, v21, v27
	v_add_f16_e32 v52, v62, v68
	;; [unrolled: 1-line block ×4, first 2 shown]
	v_fma_f16 v28, v28, v3, -v77
	v_add_f16_e32 v48, v17, v21
	v_sub_f16_e32 v50, v62, v68
	v_add_f16_e32 v51, v32, v62
	v_add_f16_e32 v54, v19, v23
	v_sub_f16_e32 v56, v66, v70
	v_add_f16_e32 v57, v60, v66
	v_sub_f16_e32 v62, v74, v78
	v_add_f16_e32 v63, v53, v74
	v_add_f16_e32 v66, v74, v78
	;; [unrolled: 1-line block ×4, first 2 shown]
	v_sub_f16_e32 v21, v21, v27
	v_sub_f16_e32 v23, v23, v46
	v_add_f16_e32 v59, v18, v22
	v_add_f16_e32 v67, v20, v24
	;; [unrolled: 1-line block ×3, first 2 shown]
	v_fma_f16 v17, -0.5, v49, v17
	v_fmac_f16_e32 v32, -0.5, v52
	v_fmac_f16_e32 v19, -0.5, v55
	;; [unrolled: 1-line block ×3, first 2 shown]
	v_add_f16_e32 v61, v22, v28
	v_sub_f16_e32 v22, v22, v28
	v_sub_f16_e32 v71, v76, v80
	;; [unrolled: 1-line block ×3, first 2 shown]
	v_add_f16_e32 v27, v48, v27
	v_add_f16_e32 v48, v51, v68
	;; [unrolled: 1-line block ×4, first 2 shown]
	v_fmac_f16_e32 v53, -0.5, v66
	v_fmac_f16_e32 v20, -0.5, v69
	;; [unrolled: 1-line block ×3, first 2 shown]
	v_add_f16_e32 v28, v59, v28
	v_add_f16_e32 v51, v63, v78
	v_add_f16_e32 v47, v67, v47
	v_add_f16_e32 v52, v73, v80
	v_fmamk_f16 v54, v50, 0x3aee, v17
	v_fmac_f16_e32 v17, 0xbaee, v50
	v_fmamk_f16 v50, v21, 0xbaee, v32
	v_fmac_f16_e32 v32, 0x3aee, v21
	v_fmamk_f16 v21, v56, 0x3aee, v19
	v_fmamk_f16 v55, v23, 0xbaee, v60
	v_fmac_f16_e32 v19, 0xbaee, v56
	v_fmac_f16_e32 v60, 0x3aee, v23
	v_fmac_f16_e32 v18, -0.5, v61
	v_add_f16_e32 v23, v27, v46
	v_add_f16_e32 v56, v48, v49
	v_sub_f16_e32 v27, v27, v46
	v_sub_f16_e32 v46, v48, v49
	v_fmamk_f16 v49, v22, 0xbaee, v53
	v_fmac_f16_e32 v53, 0x3aee, v22
	v_fmamk_f16 v22, v71, 0x3aee, v20
	v_fmamk_f16 v57, v24, 0xbaee, v72
	v_fmac_f16_e32 v20, 0xbaee, v71
	v_fmac_f16_e32 v72, 0x3aee, v24
	v_add_f16_e32 v24, v28, v47
	v_add_f16_e32 v58, v51, v52
	v_sub_f16_e32 v28, v28, v47
	v_sub_f16_e32 v47, v51, v52
	v_mul_f16_e32 v51, 0x3aee, v55
	v_mul_f16_e32 v59, 0xbaee, v21
	v_mul_f16_e32 v52, -0.5, v19
	v_mul_f16_e32 v61, -0.5, v60
	v_fmamk_f16 v48, v62, 0x3aee, v18
	v_fmac_f16_e32 v18, 0xbaee, v62
	v_mul_f16_e32 v62, 0x3aee, v57
	v_mul_f16_e32 v66, 0xbaee, v22
	v_mul_f16_e32 v63, -0.5, v20
	v_mul_f16_e32 v67, -0.5, v72
	v_fmac_f16_e32 v51, 0.5, v21
	v_fmac_f16_e32 v59, 0.5, v55
	v_fmac_f16_e32 v52, 0x3aee, v60
	v_fmac_f16_e32 v61, 0xbaee, v19
	v_fmac_f16_e32 v62, 0.5, v22
	v_fmac_f16_e32 v66, 0.5, v57
	v_fmac_f16_e32 v63, 0x3aee, v72
	v_fmac_f16_e32 v67, 0xbaee, v20
	v_add_f16_e32 v19, v54, v51
	v_add_f16_e32 v21, v50, v59
	;; [unrolled: 1-line block ×4, first 2 shown]
	v_pack_b32_f16 v27, v27, v46
	v_pack_b32_f16 v28, v28, v47
	v_sub_f16_e32 v46, v54, v51
	v_sub_f16_e32 v17, v17, v52
	;; [unrolled: 1-line block ×4, first 2 shown]
	v_add_f16_e32 v50, v48, v62
	v_add_f16_e32 v52, v49, v66
	;; [unrolled: 1-line block ×4, first 2 shown]
	v_pack_b32_f16 v23, v23, v56
	v_sub_f16_e32 v48, v48, v62
	v_sub_f16_e32 v18, v18, v63
	;; [unrolled: 1-line block ×4, first 2 shown]
	v_pack_b32_f16 v19, v19, v21
	v_pack_b32_f16 v20, v20, v22
	;; [unrolled: 1-line block ×9, first 2 shown]
	ds_write2_b32 v35, v23, v19 offset1:51
	ds_write2_b32 v35, v20, v27 offset0:102 offset1:153
	ds_write2_b32 v35, v21, v17 offset0:204 offset1:255
	;; [unrolled: 1-line block ×5, first 2 shown]
	v_add_co_u32 v17, s0, 0x800, v25
	v_add_co_ci_u32_e64 v18, s0, 0, v26, s0
	s_waitcnt lgkmcnt(0)
	s_barrier
	buffer_gl0_inv
	s_clause 0x5
	global_load_dword v46, v[25:26], off offset:1156
	global_load_dword v47, v[25:26], off offset:1360
	;; [unrolled: 1-line block ×6, first 2 shown]
	ds_read2_b32 v[62:63], v35 offset1:51
	ds_read2_b32 v[17:18], v64 offset0:50 offset1:101
	ds_read2_b32 v[66:67], v35 offset0:102 offset1:153
	;; [unrolled: 1-line block ×5, first 2 shown]
	v_lshlrev_b32_e32 v32, 2, v31
	s_waitcnt lgkmcnt(5)
	v_lshrrev_b32_e32 v23, 16, v62
	s_waitcnt lgkmcnt(4)
	v_lshrrev_b32_e32 v24, 16, v17
	v_lshrrev_b32_e32 v26, 16, v18
	s_waitcnt lgkmcnt(2)
	v_lshrrev_b32_e32 v27, 16, v19
	;; [unrolled: 3-line block ×3, first 2 shown]
	v_lshrrev_b32_e32 v53, 16, v22
	v_lshrrev_b32_e32 v25, 16, v63
	;; [unrolled: 1-line block ×6, first 2 shown]
	s_waitcnt vmcnt(5)
	v_mul_f16_sdwa v54, v24, v46 dst_sel:DWORD dst_unused:UNUSED_PAD src0_sel:DWORD src1_sel:WORD_1
	v_mul_f16_sdwa v56, v17, v46 dst_sel:DWORD dst_unused:UNUSED_PAD src0_sel:DWORD src1_sel:WORD_1
	s_waitcnt vmcnt(4)
	v_mul_f16_sdwa v57, v26, v47 dst_sel:DWORD dst_unused:UNUSED_PAD src0_sel:DWORD src1_sel:WORD_1
	v_mul_f16_sdwa v59, v18, v47 dst_sel:DWORD dst_unused:UNUSED_PAD src0_sel:DWORD src1_sel:WORD_1
	;; [unrolled: 3-line block ×6, first 2 shown]
	v_fma_f16 v17, v17, v46, -v54
	v_fmac_f16_e32 v56, v24, v46
	v_fma_f16 v24, v18, v47, -v57
	v_fmac_f16_e32 v59, v26, v47
	v_fma_f16 v19, v19, v49, -v60
	v_fmac_f16_e32 v72, v27, v49
	v_fma_f16 v26, v20, v51, -v61
	v_fmac_f16_e32 v73, v28, v51
	v_fma_f16 v21, v21, v50, -v74
	v_fmac_f16_e32 v75, v52, v50
	v_fma_f16 v27, v22, v48, -v76
	v_fmac_f16_e32 v77, v53, v48
	v_sub_f16_e32 v18, v62, v17
	v_sub_f16_e32 v61, v23, v56
	;; [unrolled: 1-line block ×12, first 2 shown]
	v_fma_f16 v17, v62, 2.0, -v18
	v_fma_f16 v52, v23, 2.0, -v61
	;; [unrolled: 1-line block ×8, first 2 shown]
	v_pack_b32_f16 v66, v18, v61
	v_pack_b32_f16 v67, v20, v59
	v_fma_f16 v21, v68, 2.0, -v22
	v_fma_f16 v58, v70, 2.0, -v54
	;; [unrolled: 1-line block ×4, first 2 shown]
	v_pack_b32_f16 v68, v28, v57
	v_pack_b32_f16 v69, v26, v56
	;; [unrolled: 1-line block ×6, first 2 shown]
	ds_write2_b32 v64, v66, v67 offset0:50 offset1:101
	v_pack_b32_f16 v66, v27, v62
	v_pack_b32_f16 v67, v25, v60
	;; [unrolled: 1-line block ×4, first 2 shown]
	ds_write2_b32 v64, v68, v69 offset0:152 offset1:203
	ds_write2_b32 v65, v70, v71 offset0:126 offset1:177
	ds_write2_b32 v35, v72, v73 offset1:51
	ds_write2_b32 v35, v66, v67 offset0:102 offset1:153
	ds_write2_b32 v35, v74, v75 offset0:204 offset1:255
	s_waitcnt lgkmcnt(0)
	s_barrier
	buffer_gl0_inv
	s_and_saveexec_b32 s1, vcc_lo
	s_cbranch_execz .LBB0_9
; %bb.8:
	s_add_u32 s2, s12, 0x990
	s_addc_u32 s3, s13, 0
	v_add_co_u32 v64, s0, s2, v30
	s_clause 0x8
	global_load_dword v66, v30, s[2:3]
	global_load_dword v80, v30, s[2:3] offset:144
	global_load_dword v81, v30, s[2:3] offset:288
	;; [unrolled: 1-line block ×8, first 2 shown]
	v_add_co_ci_u32_e64 v65, null, s3, 0, s0
	v_add_co_u32 v64, s0, 0x800, v64
	v_or_b32_e32 v67, 0x900, v30
	v_add_co_ci_u32_e64 v65, s0, 0, v65, s0
	s_clause 0x7
	global_load_dword v88, v30, s[2:3] offset:1296
	global_load_dword v89, v30, s[2:3] offset:1440
	;; [unrolled: 1-line block ×6, first 2 shown]
	global_load_dword v94, v[64:65], off offset:112
	global_load_dword v95, v67, s[2:3]
	ds_read_b32 v64, v35
	v_add_nc_u32_e32 v96, 0x200, v32
	v_add_nc_u32_e32 v97, 0x400, v32
	v_add_nc_u32_e32 v98, 0x800, v32
	s_waitcnt lgkmcnt(0)
	v_lshrrev_b32_e32 v65, 16, v64
	s_waitcnt vmcnt(16)
	v_mul_f16_sdwa v67, v65, v66 dst_sel:DWORD dst_unused:UNUSED_PAD src0_sel:DWORD src1_sel:WORD_1
	v_mul_f16_sdwa v68, v64, v66 dst_sel:DWORD dst_unused:UNUSED_PAD src0_sel:DWORD src1_sel:WORD_1
	v_fma_f16 v64, v64, v66, -v67
	v_fmac_f16_e32 v68, v65, v66
	v_pack_b32_f16 v64, v64, v68
	ds_write_b32 v35, v64
	ds_read2_b32 v[64:65], v32 offset0:36 offset1:72
	ds_read2_b32 v[66:67], v32 offset0:108 offset1:144
	;; [unrolled: 1-line block ×8, first 2 shown]
	s_waitcnt lgkmcnt(7)
	v_lshrrev_b32_e32 v99, 16, v64
	s_waitcnt vmcnt(15)
	v_mul_f16_sdwa v100, v64, v80 dst_sel:DWORD dst_unused:UNUSED_PAD src0_sel:DWORD src1_sel:WORD_1
	v_lshrrev_b32_e32 v101, 16, v65
	s_waitcnt vmcnt(14)
	v_mul_f16_sdwa v102, v65, v81 dst_sel:DWORD dst_unused:UNUSED_PAD src0_sel:DWORD src1_sel:WORD_1
	s_waitcnt lgkmcnt(6)
	v_lshrrev_b32_e32 v103, 16, v66
	s_waitcnt vmcnt(13)
	v_mul_f16_sdwa v104, v66, v82 dst_sel:DWORD dst_unused:UNUSED_PAD src0_sel:DWORD src1_sel:WORD_1
	v_lshrrev_b32_e32 v105, 16, v67
	s_waitcnt vmcnt(12)
	v_mul_f16_sdwa v106, v67, v83 dst_sel:DWORD dst_unused:UNUSED_PAD src0_sel:DWORD src1_sel:WORD_1
	;; [unrolled: 7-line block ×7, first 2 shown]
	s_waitcnt lgkmcnt(0)
	v_lshrrev_b32_e32 v127, 16, v78
	s_waitcnt vmcnt(1)
	v_mul_f16_sdwa v128, v78, v94 dst_sel:DWORD dst_unused:UNUSED_PAD src0_sel:DWORD src1_sel:WORD_1
	v_lshrrev_b32_e32 v129, 16, v79
	v_mul_f16_sdwa v131, v99, v80 dst_sel:DWORD dst_unused:UNUSED_PAD src0_sel:DWORD src1_sel:WORD_1
	v_fmac_f16_e32 v100, v99, v80
	v_mul_f16_sdwa v99, v101, v81 dst_sel:DWORD dst_unused:UNUSED_PAD src0_sel:DWORD src1_sel:WORD_1
	v_fmac_f16_e32 v102, v101, v81
	;; [unrolled: 2-line block ×9, first 2 shown]
	v_mul_f16_sdwa v115, v117, v89 dst_sel:DWORD dst_unused:UNUSED_PAD src0_sel:DWORD src1_sel:WORD_1
	s_waitcnt vmcnt(0)
	v_mul_f16_sdwa v130, v79, v95 dst_sel:DWORD dst_unused:UNUSED_PAD src0_sel:DWORD src1_sel:WORD_1
	v_fmac_f16_e32 v118, v117, v89
	v_mul_f16_sdwa v117, v119, v90 dst_sel:DWORD dst_unused:UNUSED_PAD src0_sel:DWORD src1_sel:WORD_1
	v_fmac_f16_e32 v120, v119, v90
	;; [unrolled: 2-line block ×6, first 2 shown]
	v_mul_f16_sdwa v127, v129, v95 dst_sel:DWORD dst_unused:UNUSED_PAD src0_sel:DWORD src1_sel:WORD_1
	v_fma_f16 v64, v64, v80, -v131
	v_fma_f16 v65, v65, v81, -v99
	v_fma_f16 v66, v66, v82, -v101
	v_fma_f16 v67, v67, v83, -v103
	v_fma_f16 v68, v68, v84, -v105
	v_fma_f16 v69, v69, v85, -v107
	v_fma_f16 v70, v70, v86, -v109
	v_fma_f16 v71, v71, v87, -v111
	v_fma_f16 v72, v72, v88, -v113
	v_fma_f16 v73, v73, v89, -v115
	v_fmac_f16_e32 v130, v129, v95
	v_fma_f16 v74, v74, v90, -v117
	v_fma_f16 v75, v75, v91, -v119
	;; [unrolled: 1-line block ×6, first 2 shown]
	v_pack_b32_f16 v64, v64, v100
	v_pack_b32_f16 v65, v65, v102
	;; [unrolled: 1-line block ×16, first 2 shown]
	ds_write2_b32 v32, v64, v65 offset0:36 offset1:72
	ds_write2_b32 v32, v66, v67 offset0:108 offset1:144
	;; [unrolled: 1-line block ×8, first 2 shown]
.LBB0_9:
	s_or_b32 exec_lo, exec_lo, s1
	s_waitcnt lgkmcnt(0)
	s_barrier
	buffer_gl0_inv
	s_and_saveexec_b32 s0, vcc_lo
	s_cbranch_execz .LBB0_11
; %bb.10:
	v_add_nc_u32_e32 v5, 0x400, v35
	v_add_nc_u32_e32 v7, 0x600, v35
	ds_read2_b32 v[17:18], v35 offset1:36
	ds_read2_b32 v[19:20], v35 offset0:72 offset1:108
	ds_read2_b32 v[27:28], v35 offset0:144 offset1:180
	;; [unrolled: 1-line block ×7, first 2 shown]
	ds_read_b32 v34, v35 offset:2304
	s_waitcnt lgkmcnt(8)
	v_lshrrev_b32_e32 v52, 16, v17
	v_lshrrev_b32_e32 v61, 16, v18
	s_waitcnt lgkmcnt(7)
	v_lshrrev_b32_e32 v63, 16, v19
	v_lshrrev_b32_e32 v59, 16, v20
	;; [unrolled: 3-line block ×8, first 2 shown]
	s_waitcnt lgkmcnt(0)
	v_lshrrev_b32_e32 v36, 16, v34
.LBB0_11:
	s_or_b32 exec_lo, exec_lo, s0
	s_barrier
	buffer_gl0_inv
	s_and_saveexec_b32 s0, vcc_lo
	s_cbranch_execz .LBB0_13
; %bb.12:
	v_sub_f16_e32 v69, v18, v34
	v_add_f16_e32 v105, v36, v61
	v_sub_f16_e32 v68, v19, v8
	v_add_f16_e32 v104, v37, v63
	v_sub_f16_e32 v64, v20, v7
	v_mul_f16_e32 v91, 0xba62, v69
	v_add_f16_e32 v103, v38, v59
	v_mul_f16_e32 v97, 0x3bb2, v68
	v_sub_f16_e32 v65, v27, v6
	v_mul_f16_e32 v106, 0xb5c8, v64
	v_fmamk_f16 v67, v105, 0xb8d2, v91
	v_add_f16_e32 v101, v39, v62
	v_fmamk_f16 v70, v104, 0xb461, v97
	v_sub_f16_e32 v66, v28, v5
	v_mul_f16_e32 v107, 0xb836, v65
	v_add_f16_e32 v71, v52, v67
	v_fmamk_f16 v72, v103, 0x3b76, v106
	v_add_f16_e32 v102, v40, v57
	v_sub_f16_e32 v67, v25, v24
	v_sub_f16_e32 v89, v61, v36
	v_add_f16_e32 v70, v70, v71
	v_mul_f16_e32 v108, 0x3bf7, v66
	v_fmamk_f16 v73, v101, 0xbacd, v107
	v_add_f16_e32 v88, v53, v60
	v_add_f16_e32 v71, v34, v18
	;; [unrolled: 1-line block ×3, first 2 shown]
	v_sub_f16_e32 v90, v63, v37
	v_mul_f16_e32 v109, 0xb964, v67
	v_mul_f16_e32 v110, 0xba62, v89
	v_fmamk_f16 v74, v102, 0x2de8, v108
	v_add_f16_e32 v70, v73, v70
	v_add_f16_e32 v72, v8, v19
	v_mul_f16_e32 v111, 0x3bb2, v90
	v_fmamk_f16 v73, v88, 0x39e9, v109
	v_fma_f16 v75, v71, 0xb8d2, -v110
	v_add_f16_e32 v74, v74, v70
	v_sub_f16_e32 v92, v59, v38
	v_sub_f16_e32 v70, v26, v23
	v_fma_f16 v76, v72, 0xb461, -v111
	v_add_f16_e32 v75, v17, v75
	v_add_f16_e32 v77, v73, v74
	;; [unrolled: 1-line block ×3, first 2 shown]
	v_mul_f16_e32 v112, 0xb5c8, v92
	v_sub_f16_e32 v94, v62, v39
	v_mul_f16_e32 v113, 0xb1e1, v70
	v_add_f16_e32 v98, v55, v56
	v_add_f16_e32 v76, v76, v75
	v_fma_f16 v78, v74, 0x3b76, -v112
	v_add_f16_e32 v75, v6, v27
	v_mul_f16_e32 v114, 0xb836, v94
	v_sub_f16_e32 v95, v57, v40
	v_mul_f16_e32 v86, 0xb836, v69
	v_fmamk_f16 v79, v98, 0xbbdd, v113
	v_add_f16_e32 v78, v78, v76
	v_fma_f16 v80, v75, 0xbacd, -v114
	v_add_f16_e32 v76, v5, v28
	v_mul_f16_e32 v115, 0x3bf7, v95
	v_sub_f16_e32 v93, v60, v53
	v_fmamk_f16 v81, v105, 0xbacd, v86
	v_mul_f16_e32 v87, 0x3b29, v68
	v_sub_f16_e32 v73, v21, v22
	v_add_f16_e32 v77, v79, v77
	v_add_f16_e32 v79, v80, v78
	v_fma_f16 v80, v76, 0x2de8, -v115
	v_add_f16_e32 v78, v24, v25
	v_mul_f16_e32 v117, 0xb964, v93
	v_sub_f16_e32 v96, v56, v55
	v_add_f16_e32 v81, v52, v81
	v_fmamk_f16 v83, v104, 0x3722, v87
	v_mul_f16_e32 v119, 0xbbf7, v64
	v_mul_f16_e32 v116, 0x3b29, v73
	v_add_f16_e32 v99, v54, v58
	v_add_f16_e32 v80, v80, v79
	v_fma_f16 v82, v78, 0x39e9, -v117
	v_add_f16_e32 v79, v23, v26
	v_mul_f16_e32 v118, 0xb1e1, v96
	v_add_f16_e32 v81, v83, v81
	v_fmamk_f16 v83, v103, 0x2de8, v119
	v_mul_f16_e32 v120, 0x3a62, v65
	v_fmamk_f16 v84, v99, 0x3722, v116
	v_add_f16_e32 v80, v82, v80
	v_fma_f16 v82, v79, 0xbbdd, -v118
	v_add_f16_e32 v81, v83, v81
	v_fmamk_f16 v83, v101, 0xb8d2, v120
	v_mul_f16_e32 v121, 0xb5c8, v66
	v_sub_f16_e32 v100, v58, v54
	v_mul_f16_e32 v122, 0xb836, v89
	v_add_f16_e32 v77, v84, v77
	v_add_f16_e32 v82, v82, v80
	v_add_f16_e32 v80, v22, v21
	v_add_f16_e32 v81, v83, v81
	v_fmamk_f16 v83, v102, 0x3b76, v121
	v_mul_f16_e32 v123, 0xb1e1, v67
	v_mul_f16_e32 v124, 0x3b29, v100
	v_fma_f16 v84, v71, 0xbacd, -v122
	v_mul_f16_e32 v125, 0x3b29, v90
	v_add_f16_e32 v81, v83, v81
	v_fmamk_f16 v83, v88, 0xbbdd, v123
	v_mul_f16_e32 v126, 0x3964, v70
	v_add_f16_e32 v84, v17, v84
	v_fma_f16 v85, v72, 0x3722, -v125
	v_mul_f16_e32 v127, 0xbbf7, v92
	v_fma_f16 v128, v80, 0x3722, -v124
	v_add_f16_e32 v83, v83, v81
	v_fmamk_f16 v129, v98, 0x39e9, v126
	v_add_f16_e32 v84, v85, v84
	v_fma_f16 v85, v74, 0x2de8, -v127
	v_mul_f16_e32 v130, 0x3a62, v94
	v_add_f16_e32 v81, v128, v82
	v_mul_f16_e32 v128, 0xb1e1, v69
	v_add_f16_e32 v82, v129, v83
	v_add_f16_e32 v83, v85, v84
	v_fma_f16 v84, v75, 0xb8d2, -v130
	v_mul_f16_e32 v129, 0xb5c8, v95
	v_fmamk_f16 v85, v105, 0xbbdd, v128
	v_mul_f16_e32 v132, 0x35c8, v68
	v_mul_f16_e32 v131, 0xbbb2, v73
	v_add_f16_e32 v83, v84, v83
	v_fma_f16 v84, v76, 0x3b76, -v129
	v_mul_f16_e32 v133, 0xb1e1, v93
	v_add_f16_e32 v85, v52, v85
	v_fmamk_f16 v134, v104, 0x3b76, v132
	v_mul_f16_e32 v135, 0xb836, v64
	v_add_f16_e32 v83, v84, v83
	v_fma_f16 v84, v78, 0xbbdd, -v133
	v_mul_f16_e32 v136, 0x3964, v96
	v_add_f16_e32 v85, v134, v85
	v_fmamk_f16 v134, v103, 0xbacd, v135
	v_mul_f16_e32 v137, 0x3964, v65
	v_fmamk_f16 v138, v99, 0xb461, v131
	v_add_f16_e32 v83, v84, v83
	v_fma_f16 v84, v79, 0x39e9, -v136
	v_add_f16_e32 v85, v134, v85
	v_fmamk_f16 v134, v101, 0x39e9, v137
	v_mul_f16_e32 v139, 0xba62, v66
	v_add_f16_e32 v82, v138, v82
	v_mul_f16_e32 v138, 0xb1e1, v89
	v_add_f16_e32 v83, v84, v83
	v_add_f16_e32 v84, v134, v85
	v_fmamk_f16 v85, v102, 0xb8d2, v139
	v_mul_f16_e32 v134, 0x3b29, v67
	v_fma_f16 v141, v71, 0xbbdd, -v138
	v_mul_f16_e32 v142, 0x35c8, v90
	v_mul_f16_e32 v143, 0xbbb2, v70
	v_add_f16_e32 v84, v85, v84
	v_fmamk_f16 v85, v88, 0x3722, v134
	v_add_f16_e32 v141, v17, v141
	v_fma_f16 v144, v72, 0x3b76, -v142
	v_mul_f16_e32 v145, 0xb836, v92
	v_mul_f16_e32 v147, 0x3964, v94
	v_add_f16_e32 v84, v85, v84
	v_fmamk_f16 v85, v98, 0xb461, v143
	v_add_f16_e32 v141, v144, v141
	v_fma_f16 v144, v74, 0xbacd, -v145
	v_fma_f16 v132, v104, 0x3b76, -v132
	v_mul_f16_e32 v148, 0x3b29, v93
	v_add_f16_e32 v84, v85, v84
	v_fma_f16 v85, v105, 0xbbdd, -v128
	v_add_f16_e32 v128, v144, v141
	v_fma_f16 v141, v75, 0x39e9, -v147
	v_mul_f16_e32 v144, 0xba62, v95
	v_fmac_f16_e32 v138, 0xbbdd, v71
	v_add_f16_e32 v85, v52, v85
	v_fmac_f16_e32 v142, 0x3b76, v72
	v_add_f16_e32 v128, v141, v128
	v_fma_f16 v141, v76, 0xb8d2, -v144
	v_fmac_f16_e32 v145, 0xbacd, v74
	v_add_f16_e32 v85, v132, v85
	v_fma_f16 v132, v103, 0xbacd, -v135
	v_fma_f16 v135, v78, 0x3722, -v148
	v_add_f16_e32 v128, v141, v128
	v_fmac_f16_e32 v147, 0x39e9, v75
	v_fma_f16 v86, v105, 0xbacd, -v86
	v_add_f16_e32 v85, v132, v85
	v_fma_f16 v132, v101, 0x39e9, -v137
	v_add_f16_e32 v128, v135, v128
	v_mul_f16_e32 v135, 0xbbb2, v96
	v_add_f16_e32 v137, v17, v138
	v_fmac_f16_e32 v144, 0xb8d2, v76
	v_add_f16_e32 v85, v132, v85
	v_fma_f16 v132, v102, 0xb8d2, -v139
	v_fma_f16 v138, v79, 0xb461, -v135
	v_mul_f16_e32 v139, 0x3bf7, v100
	v_add_f16_e32 v137, v142, v137
	v_fma_f16 v87, v104, 0x3722, -v87
	v_add_f16_e32 v85, v132, v85
	v_fma_f16 v132, v88, 0x3722, -v134
	;; [unrolled: 2-line block ×3, first 2 shown]
	v_add_f16_e32 v137, v145, v137
	v_fmac_f16_e32 v148, 0x3722, v78
	v_add_f16_e32 v132, v132, v85
	v_fmac_f16_e32 v122, 0xbacd, v71
	v_add_f16_e32 v85, v134, v128
	v_add_f16_e32 v128, v147, v137
	;; [unrolled: 1-line block ×3, first 2 shown]
	v_fma_f16 v119, v103, 0x2de8, -v119
	v_fmac_f16_e32 v135, 0xb461, v79
	v_add_f16_e32 v122, v17, v122
	v_add_f16_e32 v128, v144, v128
	v_add_f16_e32 v87, v87, v137
	v_fmac_f16_e32 v125, 0x3722, v72
	v_fmac_f16_e32 v139, 0x2de8, v80
	;; [unrolled: 1-line block ×3, first 2 shown]
	v_add_f16_e32 v128, v148, v128
	v_add_f16_e32 v87, v119, v87
	v_fma_f16 v119, v101, 0xb8d2, -v120
	v_add_f16_e32 v122, v125, v122
	v_fma_f16 v91, v105, 0xb8d2, -v91
	;; [unrolled: 2-line block ×3, first 2 shown]
	v_add_f16_e32 v119, v119, v87
	v_fmac_f16_e32 v130, 0xb8d2, v75
	v_add_f16_e32 v91, v52, v91
	v_add_f16_e32 v87, v139, v120
	;; [unrolled: 1-line block ×3, first 2 shown]
	v_fma_f16 v97, v104, 0xb461, -v97
	v_add_f16_e32 v119, v121, v119
	v_fma_f16 v121, v88, 0xbbdd, -v123
	v_fmac_f16_e32 v129, 0x3b76, v76
	v_add_f16_e32 v120, v130, v120
	v_add_f16_e32 v91, v97, v91
	v_fma_f16 v97, v103, 0x3b76, -v106
	v_add_f16_e32 v119, v121, v119
	v_fma_f16 v121, v98, 0x39e9, -v126
	v_add_f16_e32 v106, v129, v120
	v_fmac_f16_e32 v133, 0xbbdd, v78
	v_add_f16_e32 v97, v97, v91
	v_fma_f16 v107, v101, 0xbacd, -v107
	v_mul_f16_e32 v140, 0xbbb2, v100
	v_add_f16_e32 v119, v121, v119
	v_fma_f16 v120, v99, 0xb461, -v131
	v_add_f16_e32 v106, v133, v106
	v_fmac_f16_e32 v136, 0x39e9, v79
	v_fmac_f16_e32 v110, 0xb8d2, v71
	v_add_f16_e32 v97, v107, v97
	v_fma_f16 v107, v102, 0x2de8, -v108
	v_fma_f16 v146, v80, 0xb461, -v140
	v_add_f16_e32 v91, v120, v119
	v_add_f16_e32 v106, v136, v106
	v_fmac_f16_e32 v140, 0xb461, v80
	v_add_f16_e32 v108, v17, v110
	v_fmac_f16_e32 v111, 0xb461, v72
	v_add_f16_e32 v107, v107, v97
	v_fma_f16 v109, v88, 0x39e9, -v109
	v_mul_f16_e32 v119, 0xb461, v105
	v_add_f16_e32 v97, v140, v106
	v_add_f16_e32 v106, v111, v108
	v_fmac_f16_e32 v112, 0x3b76, v74
	v_add_f16_e32 v107, v109, v107
	v_fma_f16 v108, v98, 0xbbdd, -v113
	v_fmamk_f16 v109, v69, 0x3bb2, v119
	v_mul_f16_e32 v113, 0xbacd, v104
	v_add_f16_e32 v106, v112, v106
	v_fmac_f16_e32 v114, 0xbacd, v75
	v_add_f16_e32 v107, v108, v107
	v_add_f16_e32 v108, v52, v109
	v_fmamk_f16 v109, v68, 0xb836, v113
	v_mul_f16_e32 v112, 0x39e9, v103
	v_add_f16_e32 v106, v114, v106
	v_fmac_f16_e32 v115, 0x2de8, v76
	v_fma_f16 v110, v99, 0x3722, -v116
	v_add_f16_e32 v108, v109, v108
	v_fmamk_f16 v109, v64, 0xb964, v112
	v_mul_f16_e32 v114, 0x3722, v101
	v_add_f16_e32 v111, v115, v106
	v_fmac_f16_e32 v117, 0x39e9, v78
	v_add_f16_e32 v106, v110, v107
	v_add_f16_e32 v107, v109, v108
	v_fmamk_f16 v108, v65, 0x3b29, v114
	v_mul_f16_e32 v115, 0xbbdd, v102
	v_add_f16_e32 v109, v117, v111
	v_fmac_f16_e32 v118, 0xbbdd, v79
	v_mul_f16_e32 v116, 0xbbb2, v89
	v_add_f16_e32 v107, v108, v107
	v_fmamk_f16 v108, v66, 0x31e1, v115
	v_mul_f16_e32 v117, 0x2de8, v88
	v_add_f16_e32 v109, v118, v109
	v_fmamk_f16 v110, v71, 0xb461, v116
	;; [unrolled: 3-line block ×5, first 2 shown]
	v_fmac_f16_e32 v124, 0x3722, v80
	v_add_f16_e32 v110, v111, v110
	v_fmamk_f16 v111, v74, 0x39e9, v121
	v_mul_f16_e32 v123, 0xbb29, v94
	v_add_f16_e32 v108, v122, v108
	v_mul_f16_e32 v122, 0x2de8, v105
	v_add_f16_e32 v83, v146, v83
	v_mul_f16_e32 v146, 0x3bf7, v73
	v_fma_f16 v138, v98, 0xb461, -v143
	v_add_f16_e32 v107, v124, v109
	v_add_f16_e32 v109, v111, v110
	v_fmamk_f16 v110, v75, 0x3722, v123
	v_mul_f16_e32 v124, 0xb1e1, v95
	v_fmamk_f16 v111, v69, 0x3bf7, v122
	v_mul_f16_e32 v126, 0xbbdd, v104
	v_add_f16_e32 v132, v138, v132
	v_fma_f16 v134, v99, 0x2de8, -v146
	v_mul_f16_e32 v125, 0xb8d2, v99
	v_add_f16_e32 v109, v110, v109
	v_fmamk_f16 v110, v76, 0xbbdd, v124
	v_mul_f16_e32 v127, 0x3bf7, v93
	v_add_f16_e32 v111, v52, v111
	v_fmamk_f16 v128, v68, 0x31e1, v126
	v_mul_f16_e32 v129, 0xb461, v103
	v_add_f16_e32 v86, v134, v132
	v_add_f16_e32 v109, v110, v109
	v_fmamk_f16 v110, v78, 0x2de8, v127
	v_mul_f16_e32 v130, 0xb5c8, v96
	v_add_f16_e32 v111, v128, v111
	v_fmamk_f16 v128, v64, 0xbbb2, v129
	v_mul_f16_e32 v131, 0x3b76, v101
	v_fmamk_f16 v132, v73, 0x3a62, v125
	v_add_f16_e32 v109, v110, v109
	v_fmamk_f16 v110, v79, 0x3b76, v130
	v_add_f16_e32 v111, v128, v111
	v_fmamk_f16 v128, v65, 0xb5c8, v131
	v_mul_f16_e32 v133, 0x3722, v102
	v_add_f16_e32 v108, v132, v108
	v_mul_f16_e32 v132, 0xbbf7, v89
	v_mul_f16_e32 v134, 0xba62, v100
	v_add_f16_e32 v109, v110, v109
	v_add_f16_e32 v110, v128, v111
	v_fmamk_f16 v111, v66, 0x3b29, v133
	v_mul_f16_e32 v128, 0xbacd, v88
	v_fmamk_f16 v135, v71, 0x2de8, v132
	v_mul_f16_e32 v136, 0xb1e1, v90
	v_fmamk_f16 v140, v80, 0xb8d2, v134
	v_add_f16_e32 v110, v111, v110
	v_fmamk_f16 v111, v67, 0x3836, v128
	v_mul_f16_e32 v137, 0xb8d2, v98
	v_add_f16_e32 v135, v17, v135
	v_fmamk_f16 v138, v72, 0xbbdd, v136
	v_mul_f16_e32 v139, 0x3bb2, v92
	v_add_f16_e32 v109, v140, v109
	v_mul_f16_e32 v140, 0x3722, v105
	v_add_f16_e32 v110, v111, v110
	v_fmamk_f16 v111, v70, 0xba62, v137
	v_add_f16_e32 v135, v138, v135
	v_fmamk_f16 v138, v74, 0xb461, v139
	v_mul_f16_e32 v141, 0x35c8, v94
	v_fmamk_f16 v143, v69, 0x3b29, v140
	v_mul_f16_e32 v144, 0xb8d2, v104
	v_fmamk_f16 v149, v99, 0x2de8, v146
	v_add_f16_e32 v110, v111, v110
	v_add_f16_e32 v111, v138, v135
	v_fmamk_f16 v135, v75, 0x3b76, v141
	v_mul_f16_e32 v138, 0xbb29, v95
	v_add_f16_e32 v143, v52, v143
	v_fmamk_f16 v146, v68, 0x3a62, v144
	v_mul_f16_e32 v147, 0xbbdd, v103
	v_add_f16_e32 v84, v149, v84
	v_mul_f16_e32 v142, 0x39e9, v99
	v_add_f16_e32 v111, v135, v111
	v_fmamk_f16 v135, v76, 0x3722, v138
	v_mul_f16_e32 v145, 0xb836, v93
	v_add_f16_e32 v143, v146, v143
	v_fmamk_f16 v146, v64, 0xb1e1, v147
	;; [unrolled: 3-line block ×3, first 2 shown]
	v_mul_f16_e32 v148, 0x3a62, v96
	v_fmamk_f16 v150, v73, 0xb964, v142
	v_add_f16_e32 v143, v146, v143
	v_fmamk_f16 v146, v65, 0xbbb2, v149
	v_mul_f16_e32 v151, 0x39e9, v102
	v_add_f16_e32 v111, v135, v111
	v_fmamk_f16 v135, v79, 0xb8d2, v148
	v_add_f16_e32 v110, v150, v110
	v_add_f16_e32 v143, v146, v143
	v_fmamk_f16 v146, v66, 0xb964, v151
	v_mul_f16_e32 v150, 0x3b76, v88
	v_add_f16_e32 v111, v135, v111
	v_mul_f16_e32 v135, 0xbb29, v89
	v_mul_f16_e32 v155, 0x2de8, v98
	v_add_f16_e32 v143, v146, v143
	v_fmamk_f16 v146, v67, 0x35c8, v150
	v_mul_f16_e32 v154, 0xba62, v90
	v_fmamk_f16 v153, v71, 0x3722, v135
	v_mul_f16_e32 v152, 0x3964, v100
	v_mul_f16_e32 v157, 0x31e1, v92
	v_add_f16_e32 v143, v146, v143
	v_fmamk_f16 v146, v70, 0x3bf7, v155
	v_add_f16_e32 v153, v17, v153
	v_fmamk_f16 v156, v72, 0xb8d2, v154
	v_fmamk_f16 v158, v80, 0x39e9, v152
	v_mul_f16_e32 v159, 0x3bb2, v94
	v_add_f16_e32 v143, v146, v143
	v_mul_f16_e32 v146, 0x39e9, v105
	v_mul_f16_e32 v105, 0x3b76, v105
	v_add_f16_e32 v153, v156, v153
	v_fmamk_f16 v156, v74, 0xbbdd, v157
	v_mul_f16_e32 v162, 0x2de8, v104
	v_mul_f16_e32 v104, 0x39e9, v104
	v_fmamk_f16 v178, v69, 0x35c8, v105
	v_add_f16_e32 v18, v18, v17
	v_add_f16_e32 v111, v158, v111
	;; [unrolled: 1-line block ×3, first 2 shown]
	v_fmamk_f16 v156, v75, 0xb461, v159
	v_mul_f16_e32 v158, 0x3964, v95
	v_mul_f16_e32 v165, 0xb8d2, v103
	v_add_f16_e32 v178, v52, v178
	v_fmamk_f16 v180, v68, 0x3964, v104
	v_mul_f16_e32 v103, 0x3722, v103
	v_add_f16_e32 v61, v61, v52
	v_add_f16_e32 v18, v19, v18
	v_mul_f16_e32 v160, 0xbacd, v99
	v_add_f16_e32 v153, v156, v153
	v_fmamk_f16 v156, v76, 0x39e9, v158
	v_mul_f16_e32 v163, 0xb5c8, v93
	v_mul_f16_e32 v167, 0xbbdd, v101
	v_add_f16_e32 v178, v180, v178
	v_fmamk_f16 v180, v64, 0x3b29, v103
	v_mul_f16_e32 v101, 0x2de8, v101
	v_add_f16_e32 v19, v63, v61
	v_add_f16_e32 v18, v20, v18
	;; [unrolled: 1-line block ×3, first 2 shown]
	v_fmamk_f16 v156, v78, 0x3b76, v163
	v_mul_f16_e32 v166, 0xbbf7, v96
	v_fmamk_f16 v168, v73, 0x3836, v160
	v_mul_f16_e32 v169, 0xbacd, v102
	v_add_f16_e32 v178, v180, v178
	v_fmamk_f16 v180, v65, 0x3bf7, v101
	v_mul_f16_e32 v102, 0xb461, v102
	v_add_f16_e32 v19, v59, v19
	v_add_f16_e32 v18, v27, v18
	;; [unrolled: 1-line block ×3, first 2 shown]
	v_fmamk_f16 v156, v79, 0x2de8, v166
	v_add_f16_e32 v143, v168, v143
	v_mul_f16_e32 v168, 0xb461, v88
	v_add_f16_e32 v178, v180, v178
	v_fmamk_f16 v180, v66, 0x3bb2, v102
	v_mul_f16_e32 v88, 0xb8d2, v88
	v_add_f16_e32 v19, v62, v19
	v_add_f16_e32 v18, v28, v18
	;; [unrolled: 1-line block ×3, first 2 shown]
	v_mul_f16_e32 v156, 0xb964, v89
	v_add_f16_e32 v178, v180, v178
	v_fmamk_f16 v61, v67, 0x3a62, v88
	v_mul_f16_e32 v89, 0xb5c8, v89
	v_add_f16_e32 v19, v57, v19
	v_add_f16_e32 v18, v25, v18
	v_mul_f16_e32 v27, 0xb964, v90
	v_add_f16_e32 v20, v61, v178
	v_fmamk_f16 v61, v71, 0x3b76, v89
	v_add_f16_e32 v19, v60, v19
	v_add_f16_e32 v18, v26, v18
	v_fmamk_f16 v28, v72, 0x39e9, v27
	v_mul_f16_e32 v57, 0xbb29, v92
	v_add_f16_e32 v61, v17, v61
	v_add_f16_e32 v19, v56, v19
	;; [unrolled: 1-line block ×3, first 2 shown]
	v_mul_f16_e32 v60, 0xbbf7, v94
	v_mul_f16_e32 v56, 0xbbb2, v95
	v_add_f16_e32 v25, v28, v61
	v_fmamk_f16 v28, v74, 0x3722, v57
	v_add_f16_e32 v19, v58, v19
	v_add_f16_e32 v18, v22, v18
	v_fmac_f16_e32 v119, 0xbbb2, v69
	v_fmamk_f16 v22, v76, 0xb461, v56
	v_add_f16_e32 v25, v28, v25
	v_fmamk_f16 v28, v75, 0x2de8, v60
	v_add_f16_e32 v19, v54, v19
	v_add_f16_e32 v18, v23, v18
	;; [unrolled: 1-line block ×3, first 2 shown]
	v_fmac_f16_e32 v113, 0x3836, v68
	v_add_f16_e32 v25, v28, v25
	v_mul_f16_e32 v28, 0xba62, v93
	v_add_f16_e32 v19, v55, v19
	v_add_f16_e32 v18, v24, v18
	;; [unrolled: 1-line block ×4, first 2 shown]
	v_fmamk_f16 v25, v78, 0xb8d2, v28
	v_add_f16_e32 v19, v53, v19
	v_fmac_f16_e32 v112, 0x3964, v64
	v_mul_f16_e32 v24, 0xb836, v96
	v_add_f16_e32 v5, v5, v18
	v_mul_f16_e32 v59, 0xbacd, v98
	v_add_f16_e32 v22, v25, v22
	v_add_f16_e32 v18, v40, v19
	;; [unrolled: 1-line block ×3, first 2 shown]
	v_fmac_f16_e32 v114, 0xbb29, v65
	v_fmamk_f16 v23, v79, 0xbacd, v24
	v_mul_f16_e32 v25, 0xb1e1, v100
	v_add_f16_e32 v5, v6, v5
	v_fmamk_f16 v62, v70, 0x3836, v59
	v_mul_f16_e32 v26, 0xbbdd, v99
	v_add_f16_e32 v6, v39, v18
	v_add_f16_e32 v18, v114, v19
	;; [unrolled: 1-line block ×3, first 2 shown]
	v_fmamk_f16 v22, v80, 0xbbdd, v25
	v_add_f16_e32 v5, v7, v5
	v_add_f16_e32 v20, v62, v20
	v_fmamk_f16 v21, v73, 0x31e1, v26
	v_fmac_f16_e32 v115, 0xb1e1, v66
	v_fmac_f16_e32 v122, 0xbbf7, v69
	v_add_f16_e32 v5, v8, v5
	v_add_f16_e32 v8, v22, v19
	v_fma_f16 v19, v71, 0xb461, -v116
	v_add_f16_e32 v7, v115, v18
	v_add_f16_e32 v18, v21, v20
	v_fma_f16 v20, v72, 0xbacd, -v118
	v_add_f16_e32 v21, v52, v122
	v_add_f16_e32 v19, v17, v19
	v_fmac_f16_e32 v126, 0xb1e1, v68
	v_fma_f16 v22, v71, 0x2de8, -v132
	v_fmac_f16_e32 v129, 0x3bb2, v64
	v_fma_f16 v23, v72, 0xbbdd, -v136
	v_add_f16_e32 v19, v20, v19
	v_fma_f16 v20, v74, 0x39e9, -v121
	v_add_f16_e32 v21, v126, v21
	v_add_f16_e32 v22, v17, v22
	v_fmac_f16_e32 v131, 0x35c8, v65
	v_fmac_f16_e32 v133, 0xbb29, v66
	v_add_f16_e32 v19, v20, v19
	v_fma_f16 v20, v75, 0x3722, -v123
	v_add_f16_e32 v21, v129, v21
	v_add_f16_e32 v22, v23, v22
	v_fma_f16 v23, v74, 0xb461, -v139
	v_fmac_f16_e32 v128, 0xb836, v67
	v_add_f16_e32 v19, v20, v19
	v_fma_f16 v20, v76, 0xbbdd, -v124
	v_add_f16_e32 v21, v131, v21
	v_add_f16_e32 v22, v23, v22
	v_fma_f16 v23, v75, 0x3b76, -v141
	;; [unrolled: 6-line block ×3, first 2 shown]
	v_add_f16_e32 v6, v38, v6
	v_add_f16_e32 v19, v20, v19
	v_fma_f16 v20, v79, 0x3b76, -v130
	v_add_f16_e32 v21, v128, v21
	v_add_f16_e32 v22, v23, v22
	v_fma_f16 v23, v78, 0xbacd, -v145
	v_fmac_f16_e32 v142, 0x3964, v73
	v_add_f16_e32 v19, v20, v19
	v_fma_f16 v20, v80, 0xb8d2, -v134
	v_add_f16_e32 v21, v137, v21
	v_add_f16_e32 v6, v37, v6
	v_add_f16_e32 v22, v23, v22
	v_fma_f16 v23, v79, 0xb8d2, -v148
	v_add_f16_e32 v19, v20, v19
	v_fmac_f16_e32 v140, 0xbb29, v69
	v_add_f16_e32 v20, v142, v21
	v_fma_f16 v21, v71, 0x3722, -v135
	v_fmamk_f16 v161, v69, 0x3964, v146
	v_add_f16_e32 v5, v34, v5
	v_add_f16_e32 v6, v36, v6
	;; [unrolled: 1-line block ×3, first 2 shown]
	v_fma_f16 v23, v80, 0x39e9, -v152
	v_add_f16_e32 v34, v52, v140
	v_fmac_f16_e32 v144, 0xba62, v68
	v_add_f16_e32 v21, v17, v21
	v_fma_f16 v36, v72, 0xb8d2, -v154
	v_fmac_f16_e32 v146, 0xb964, v69
	v_add_f16_e32 v161, v52, v161
	v_fmamk_f16 v164, v68, 0x3bf7, v162
	v_add_f16_e32 v22, v23, v22
	v_add_f16_e32 v23, v144, v34
	;; [unrolled: 1-line block ×3, first 2 shown]
	v_fma_f16 v34, v74, 0xbbdd, -v157
	v_add_f16_e32 v36, v52, v146
	v_fmac_f16_e32 v162, 0xbbf7, v68
	v_add_f16_e32 v161, v164, v161
	v_fmamk_f16 v164, v64, 0x3a62, v165
	v_add_f16_e32 v21, v34, v21
	v_fma_f16 v34, v75, 0xb461, -v159
	v_add_f16_e32 v36, v162, v36
	v_fmac_f16_e32 v165, 0xba62, v64
	v_add_f16_e32 v161, v164, v161
	v_fmamk_f16 v164, v65, 0x31e1, v167
	v_add_f16_e32 v21, v34, v21
	v_fma_f16 v34, v76, 0x39e9, -v158
	v_add_f16_e32 v36, v165, v36
	v_fmac_f16_e32 v167, 0xb1e1, v65
	v_add_f16_e32 v161, v164, v161
	v_fmamk_f16 v164, v66, 0xb836, v169
	v_fmamk_f16 v171, v71, 0x39e9, v156
	v_mul_f16_e32 v172, 0xbbf7, v90
	v_add_f16_e32 v21, v34, v21
	v_fma_f16 v34, v78, 0x3b76, -v163
	v_add_f16_e32 v36, v167, v36
	v_fmac_f16_e32 v169, 0x3836, v66
	v_add_f16_e32 v161, v164, v161
	v_fmamk_f16 v164, v67, 0xbbb2, v168
	v_mul_f16_e32 v173, 0x3722, v98
	v_add_f16_e32 v171, v17, v171
	v_fmamk_f16 v174, v72, 0x2de8, v172
	v_mul_f16_e32 v175, 0xba62, v92
	v_mul_f16_e32 v170, 0xb836, v100
	v_add_f16_e32 v21, v34, v21
	v_fma_f16 v34, v79, 0x2de8, -v166
	v_add_f16_e32 v36, v169, v36
	v_fmac_f16_e32 v168, 0x3bb2, v67
	v_add_f16_e32 v161, v164, v161
	v_fmamk_f16 v164, v70, 0xbb29, v173
	v_add_f16_e32 v171, v174, v171
	v_fmamk_f16 v174, v74, 0xb8d2, v175
	v_mul_f16_e32 v177, 0xb1e1, v94
	v_add_f16_e32 v21, v34, v21
	v_fma_f16 v34, v80, 0xbacd, -v170
	v_add_f16_e32 v36, v168, v36
	v_fmac_f16_e32 v173, 0x3b29, v70
	v_fma_f16 v37, v71, 0x39e9, -v156
	v_fmac_f16_e32 v105, 0xb5c8, v69
	v_fma_f16 v39, v71, 0x3b76, -v89
	v_add_f16_e32 v161, v164, v161
	v_add_f16_e32 v164, v174, v171
	v_fmamk_f16 v171, v75, 0xbbdd, v177
	v_mul_f16_e32 v174, 0x3836, v95
	v_add_f16_e32 v21, v34, v21
	v_add_f16_e32 v34, v173, v36
	v_add_f16_e32 v36, v17, v37
	v_fma_f16 v37, v72, 0x2de8, -v172
	v_add_f16_e32 v38, v52, v105
	v_fmac_f16_e32 v104, 0xb964, v68
	v_add_f16_e32 v17, v17, v39
	v_fma_f16 v27, v72, 0x39e9, -v27
	v_add_f16_e32 v164, v171, v164
	v_fmamk_f16 v171, v76, 0xbacd, v174
	v_mul_f16_e32 v179, 0x3bb2, v93
	v_fmac_f16_e32 v147, 0x31e1, v64
	v_add_f16_e32 v36, v37, v36
	v_fma_f16 v37, v74, 0xb8d2, -v175
	v_add_f16_e32 v38, v104, v38
	v_fmac_f16_e32 v103, 0xbb29, v64
	v_add_f16_e32 v17, v27, v17
	v_fma_f16 v27, v74, 0x3722, -v57
	v_fmamk_f16 v176, v80, 0xbacd, v170
	v_add_f16_e32 v164, v171, v164
	v_fmamk_f16 v171, v78, 0xb461, v179
	v_mul_f16_e32 v181, 0x3b29, v96
	v_add_f16_e32 v23, v147, v23
	v_fmac_f16_e32 v149, 0x3bb2, v65
	v_add_f16_e32 v36, v37, v36
	v_fma_f16 v37, v75, 0xbbdd, -v177
	v_add_f16_e32 v38, v103, v38
	v_fmac_f16_e32 v101, 0xbbf7, v65
	v_add_f16_e32 v17, v27, v17
	v_fma_f16 v27, v75, 0x2de8, -v60
	v_add_f16_e32 v153, v176, v153
	v_mul_f16_e32 v176, 0x3b76, v99
	v_add_f16_e32 v164, v171, v164
	v_fmamk_f16 v171, v79, 0x3722, v181
	v_add_f16_e32 v23, v149, v23
	v_fmac_f16_e32 v151, 0x3964, v66
	v_add_f16_e32 v36, v37, v36
	v_fma_f16 v37, v76, 0xbacd, -v174
	v_add_f16_e32 v38, v101, v38
	v_fmac_f16_e32 v102, 0xbbb2, v66
	v_add_f16_e32 v17, v27, v17
	v_fma_f16 v27, v76, 0xb461, -v56
	v_fmamk_f16 v182, v73, 0xb5c8, v176
	v_add_f16_e32 v164, v171, v164
	v_mul_f16_e32 v171, 0x35c8, v100
	v_fmac_f16_e32 v117, 0x3bf7, v67
	v_add_f16_e32 v23, v151, v23
	v_fmac_f16_e32 v150, 0xb5c8, v67
	v_add_f16_e32 v36, v37, v36
	v_fma_f16 v37, v78, 0xb461, -v179
	v_add_f16_e32 v38, v102, v38
	v_fmac_f16_e32 v88, 0xba62, v67
	v_add_f16_e32 v17, v27, v17
	v_fma_f16 v27, v78, 0xb8d2, -v28
	v_fmac_f16_e32 v176, 0x35c8, v73
	v_add_f16_e32 v161, v182, v161
	v_fmamk_f16 v182, v80, 0x3b76, v171
	v_add_f16_e32 v7, v117, v7
	v_fmac_f16_e32 v120, 0xb5c8, v70
	v_add_f16_e32 v23, v150, v23
	v_fmac_f16_e32 v155, 0xbbf7, v70
	v_add_f16_e32 v36, v37, v36
	v_fma_f16 v37, v79, 0x3722, -v181
	v_add_f16_e32 v38, v88, v38
	v_fmac_f16_e32 v59, 0xb836, v70
	v_add_f16_e32 v17, v27, v17
	v_fma_f16 v24, v79, 0xbacd, -v24
	v_add_f16_e32 v27, v176, v34
	v_mov_b32_e32 v34, 2
	v_add_f16_e32 v63, v182, v164
	v_add_f16_e32 v7, v120, v7
	v_fmac_f16_e32 v125, 0xba62, v73
	v_add_f16_e32 v23, v155, v23
	v_fmac_f16_e32 v160, 0xb836, v73
	v_add_f16_e32 v28, v37, v36
	v_fma_f16 v36, v80, 0x3b76, -v171
	v_add_f16_e32 v37, v59, v38
	v_fmac_f16_e32 v26, 0xb1e1, v73
	v_add_f16_e32 v17, v24, v17
	v_fma_f16 v24, v80, 0xbbdd, -v25
	v_lshlrev_b32_sdwa v25, v34, v33 dst_sel:DWORD dst_unused:UNUSED_PAD src0_sel:DWORD src1_sel:WORD_0
	v_pack_b32_f16 v8, v8, v18
	v_pack_b32_f16 v5, v5, v6
	;; [unrolled: 1-line block ×4, first 2 shown]
	v_add_f16_e32 v7, v125, v7
	v_pack_b32_f16 v33, v109, v108
	v_pack_b32_f16 v34, v111, v110
	v_add_f16_e32 v23, v160, v23
	v_add_f16_e32 v28, v36, v28
	;; [unrolled: 1-line block ×3, first 2 shown]
	v_pack_b32_f16 v36, v97, v91
	v_pack_b32_f16 v37, v107, v106
	v_add_f16_e32 v17, v24, v17
	ds_write2_b32 v25, v5, v8 offset1:1
	ds_write2_b32 v25, v18, v6 offset0:2 offset1:3
	ds_write2_b32 v25, v34, v33 offset0:4 offset1:5
	;; [unrolled: 1-line block ×3, first 2 shown]
	v_pack_b32_f16 v5, v85, v84
	v_pack_b32_f16 v6, v87, v86
	;; [unrolled: 1-line block ×9, first 2 shown]
	ds_write2_b32 v25, v6, v5 offset0:8 offset1:9
	ds_write2_b32 v25, v18, v8 offset0:10 offset1:11
	;; [unrolled: 1-line block ×4, first 2 shown]
	ds_write_b32 v25, v17 offset:64
.LBB0_13:
	s_or_b32 exec_lo, exec_lo, s0
	v_add_nc_u32_e32 v5, 0x400, v35
	v_add_nc_u32_e32 v6, 0x600, v35
	s_waitcnt lgkmcnt(0)
	s_barrier
	buffer_gl0_inv
	ds_read2_b32 v[7:8], v35 offset1:51
	ds_read2_b32 v[17:18], v35 offset0:204 offset1:255
	ds_read2_b32 v[19:20], v35 offset0:102 offset1:153
	;; [unrolled: 1-line block ×5, first 2 shown]
	s_waitcnt lgkmcnt(0)
	s_barrier
	buffer_gl0_inv
	v_lshrrev_b32_e32 v27, 16, v7
	v_lshrrev_b32_e32 v28, 16, v17
	v_lshrrev_b32_e32 v34, 16, v18
	v_mul_f16_sdwa v38, v15, v17 dst_sel:DWORD dst_unused:UNUSED_PAD src0_sel:WORD_1 src1_sel:DWORD
	v_lshrrev_b32_e32 v40, 16, v21
	v_lshrrev_b32_e32 v52, 16, v22
	;; [unrolled: 1-line block ×3, first 2 shown]
	v_mul_f16_sdwa v57, v15, v28 dst_sel:DWORD dst_unused:UNUSED_PAD src0_sel:WORD_1 src1_sel:DWORD
	v_fma_f16 v28, v15, v28, -v38
	v_mul_f16_sdwa v38, v16, v21 dst_sel:DWORD dst_unused:UNUSED_PAD src0_sel:WORD_1 src1_sel:DWORD
	v_mul_f16_sdwa v58, v13, v34 dst_sel:DWORD dst_unused:UNUSED_PAD src0_sel:WORD_1 src1_sel:DWORD
	;; [unrolled: 1-line block ×4, first 2 shown]
	v_lshrrev_b32_e32 v54, 16, v25
	v_lshrrev_b32_e32 v55, 16, v24
	v_fmac_f16_e32 v57, v15, v17
	v_fma_f16 v15, v16, v40, -v38
	v_mul_f16_sdwa v17, v14, v52 dst_sel:DWORD dst_unused:UNUSED_PAD src0_sel:WORD_1 src1_sel:DWORD
	v_fmac_f16_e32 v58, v13, v18
	v_fmac_f16_e32 v60, v16, v21
	v_mul_f16_sdwa v16, v11, v53 dst_sel:DWORD dst_unused:UNUSED_PAD src0_sel:WORD_1 src1_sel:DWORD
	v_mul_f16_sdwa v18, v11, v23 dst_sel:DWORD dst_unused:UNUSED_PAD src0_sel:WORD_1 src1_sel:DWORD
	v_lshrrev_b32_e32 v56, 16, v26
	v_mul_f16_sdwa v59, v14, v22 dst_sel:DWORD dst_unused:UNUSED_PAD src0_sel:WORD_1 src1_sel:DWORD
	v_fmac_f16_e32 v17, v14, v22
	v_mul_f16_sdwa v21, v12, v54 dst_sel:DWORD dst_unused:UNUSED_PAD src0_sel:WORD_1 src1_sel:DWORD
	v_fmac_f16_e32 v16, v11, v23
	v_mul_f16_sdwa v22, v12, v25 dst_sel:DWORD dst_unused:UNUSED_PAD src0_sel:WORD_1 src1_sel:DWORD
	v_fma_f16 v11, v11, v53, -v18
	v_mul_f16_sdwa v18, v9, v55 dst_sel:DWORD dst_unused:UNUSED_PAD src0_sel:WORD_1 src1_sel:DWORD
	v_mul_f16_sdwa v23, v9, v24 dst_sel:DWORD dst_unused:UNUSED_PAD src0_sel:WORD_1 src1_sel:DWORD
	v_fmac_f16_e32 v21, v12, v25
	v_fma_f16 v12, v12, v54, -v22
	v_mul_f16_sdwa v22, v10, v56 dst_sel:DWORD dst_unused:UNUSED_PAD src0_sel:WORD_1 src1_sel:DWORD
	v_fmac_f16_e32 v18, v9, v24
	v_mul_f16_sdwa v24, v10, v26 dst_sel:DWORD dst_unused:UNUSED_PAD src0_sel:WORD_1 src1_sel:DWORD
	v_fma_f16 v9, v9, v55, -v23
	v_add_f16_e32 v23, v57, v60
	v_fmac_f16_e32 v22, v10, v26
	v_add_f16_e32 v25, v7, v57
	v_fma_f16 v10, v10, v56, -v24
	v_add_f16_e32 v24, v28, v15
	v_fma_f16 v7, -0.5, v23, v7
	v_sub_f16_e32 v23, v28, v15
	v_fma_f16 v13, v13, v34, -v39
	v_fma_f16 v14, v14, v52, -v59
	v_add_f16_e32 v26, v27, v28
	v_fmac_f16_e32 v27, -0.5, v24
	v_sub_f16_e32 v24, v57, v60
	v_lshrrev_b32_e32 v33, 16, v8
	v_fmamk_f16 v28, v23, 0xbaee, v7
	v_fmac_f16_e32 v7, 0x3aee, v23
	v_add_f16_e32 v23, v58, v17
	v_add_f16_e32 v15, v26, v15
	v_fmamk_f16 v26, v24, 0x3aee, v27
	v_add_f16_e32 v34, v8, v58
	v_fmac_f16_e32 v27, 0xbaee, v24
	v_add_f16_e32 v24, v13, v14
	v_fmac_f16_e32 v8, -0.5, v23
	v_sub_f16_e32 v23, v13, v14
	v_add_f16_e32 v13, v33, v13
	v_add_f16_e32 v34, v34, v17
	v_fmac_f16_e32 v33, -0.5, v24
	v_sub_f16_e32 v17, v58, v17
	v_lshrrev_b32_e32 v36, 16, v19
	v_add_f16_e32 v13, v13, v14
	v_add_f16_e32 v14, v16, v21
	v_fmamk_f16 v24, v23, 0xbaee, v8
	v_fmac_f16_e32 v8, 0x3aee, v23
	v_fmamk_f16 v23, v17, 0x3aee, v33
	v_fmac_f16_e32 v33, 0xbaee, v17
	v_add_f16_e32 v17, v11, v12
	v_add_f16_e32 v38, v19, v16
	v_fma_f16 v14, -0.5, v14, v19
	v_sub_f16_e32 v19, v11, v12
	v_add_f16_e32 v11, v36, v11
	v_fmac_f16_e32 v36, -0.5, v17
	v_sub_f16_e32 v16, v16, v21
	v_lshrrev_b32_e32 v37, 16, v20
	v_fmamk_f16 v17, v19, 0xbaee, v14
	v_add_f16_e32 v11, v11, v12
	v_add_f16_e32 v12, v18, v22
	v_fmac_f16_e32 v14, 0x3aee, v19
	v_fmamk_f16 v19, v16, 0x3aee, v36
	v_fmac_f16_e32 v36, 0xbaee, v16
	v_add_f16_e32 v16, v9, v10
	v_add_f16_e32 v25, v25, v60
	;; [unrolled: 1-line block ×4, first 2 shown]
	v_fmac_f16_e32 v20, -0.5, v12
	v_sub_f16_e32 v12, v9, v10
	v_add_f16_e32 v9, v37, v9
	v_fmac_f16_e32 v37, -0.5, v16
	v_sub_f16_e32 v16, v18, v22
	v_add_f16_e32 v18, v21, v22
	v_fmamk_f16 v21, v12, 0xbaee, v20
	v_fmac_f16_e32 v20, 0x3aee, v12
	v_pack_b32_f16 v12, v25, v15
	v_pack_b32_f16 v15, v28, v26
	;; [unrolled: 1-line block ×3, first 2 shown]
	v_add_f16_e32 v9, v9, v10
	v_fmamk_f16 v10, v16, 0x3aee, v37
	v_fmac_f16_e32 v37, 0xbaee, v16
	v_pack_b32_f16 v13, v34, v13
	v_pack_b32_f16 v16, v24, v23
	ds_write2_b32 v44, v12, v15 offset1:17
	ds_write_b32 v44, v7 offset:136
	ds_write2_b32 v43, v13, v16 offset1:17
	v_pack_b32_f16 v7, v8, v33
	v_pack_b32_f16 v8, v38, v11
	;; [unrolled: 1-line block ×7, first 2 shown]
	ds_write_b32 v43, v7 offset:136
	ds_write2_b32 v42, v8, v11 offset1:17
	ds_write_b32 v42, v12 offset:136
	ds_write2_b32 v41, v9, v10 offset1:17
	ds_write_b32 v41, v13 offset:136
	s_waitcnt lgkmcnt(0)
	s_barrier
	buffer_gl0_inv
	ds_read2_b32 v[7:8], v35 offset1:51
	ds_read2_b32 v[9:10], v35 offset0:102 offset1:153
	ds_read2_b32 v[11:12], v35 offset0:204 offset1:255
	;; [unrolled: 1-line block ×5, first 2 shown]
	s_waitcnt lgkmcnt(0)
	s_barrier
	buffer_gl0_inv
	v_lshrrev_b32_e32 v19, 16, v7
	v_lshrrev_b32_e32 v20, 16, v9
	;; [unrolled: 1-line block ×4, first 2 shown]
	v_mul_f16_sdwa v36, v0, v9 dst_sel:DWORD dst_unused:UNUSED_PAD src0_sel:WORD_1 src1_sel:DWORD
	v_lshrrev_b32_e32 v23, 16, v15
	v_mul_f16_sdwa v33, v0, v20 dst_sel:DWORD dst_unused:UNUSED_PAD src0_sel:WORD_1 src1_sel:DWORD
	v_mul_f16_sdwa v38, v1, v21 dst_sel:DWORD dst_unused:UNUSED_PAD src0_sel:WORD_1 src1_sel:DWORD
	v_lshrrev_b32_e32 v24, 16, v17
	v_fma_f16 v20, v0, v20, -v36
	v_mul_f16_sdwa v36, v2, v22 dst_sel:DWORD dst_unused:UNUSED_PAD src0_sel:WORD_1 src1_sel:DWORD
	v_fmac_f16_e32 v33, v0, v9
	v_mul_f16_sdwa v9, v1, v11 dst_sel:DWORD dst_unused:UNUSED_PAD src0_sel:WORD_1 src1_sel:DWORD
	v_fmac_f16_e32 v38, v1, v11
	v_mul_f16_sdwa v11, v2, v13 dst_sel:DWORD dst_unused:UNUSED_PAD src0_sel:WORD_1 src1_sel:DWORD
	v_lshrrev_b32_e32 v26, 16, v10
	v_fmac_f16_e32 v36, v2, v13
	v_fma_f16 v9, v1, v21, -v9
	v_mul_f16_sdwa v21, v3, v23 dst_sel:DWORD dst_unused:UNUSED_PAD src0_sel:WORD_1 src1_sel:DWORD
	v_mul_f16_sdwa v13, v3, v15 dst_sel:DWORD dst_unused:UNUSED_PAD src0_sel:WORD_1 src1_sel:DWORD
	v_fma_f16 v11, v2, v22, -v11
	v_mul_f16_sdwa v22, v45, v24 dst_sel:DWORD dst_unused:UNUSED_PAD src0_sel:WORD_1 src1_sel:DWORD
	v_lshrrev_b32_e32 v27, 16, v12
	v_lshrrev_b32_e32 v28, 16, v14
	v_fmac_f16_e32 v21, v3, v15
	v_mul_f16_sdwa v15, v45, v17 dst_sel:DWORD dst_unused:UNUSED_PAD src0_sel:WORD_1 src1_sel:DWORD
	v_fma_f16 v13, v3, v23, -v13
	v_mul_f16_sdwa v23, v0, v26 dst_sel:DWORD dst_unused:UNUSED_PAD src0_sel:WORD_1 src1_sel:DWORD
	v_fmac_f16_e32 v22, v45, v17
	v_mul_f16_sdwa v17, v0, v10 dst_sel:DWORD dst_unused:UNUSED_PAD src0_sel:WORD_1 src1_sel:DWORD
	v_lshrrev_b32_e32 v34, 16, v16
	v_fma_f16 v15, v45, v24, -v15
	v_mul_f16_sdwa v24, v1, v27 dst_sel:DWORD dst_unused:UNUSED_PAD src0_sel:WORD_1 src1_sel:DWORD
	v_fmac_f16_e32 v23, v0, v10
	v_mul_f16_sdwa v10, v1, v12 dst_sel:DWORD dst_unused:UNUSED_PAD src0_sel:WORD_1 src1_sel:DWORD
	v_fma_f16 v0, v0, v26, -v17
	v_mul_f16_sdwa v17, v2, v28 dst_sel:DWORD dst_unused:UNUSED_PAD src0_sel:WORD_1 src1_sel:DWORD
	v_lshrrev_b32_e32 v37, 16, v18
	v_fmac_f16_e32 v24, v1, v12
	v_mul_f16_sdwa v12, v2, v14 dst_sel:DWORD dst_unused:UNUSED_PAD src0_sel:WORD_1 src1_sel:DWORD
	v_fma_f16 v1, v1, v27, -v10
	v_mul_f16_sdwa v10, v3, v34 dst_sel:DWORD dst_unused:UNUSED_PAD src0_sel:WORD_1 src1_sel:DWORD
	v_fmac_f16_e32 v17, v2, v14
	v_mul_f16_sdwa v14, v3, v16 dst_sel:DWORD dst_unused:UNUSED_PAD src0_sel:WORD_1 src1_sel:DWORD
	v_fma_f16 v2, v2, v28, -v12
	v_mul_f16_sdwa v12, v45, v37 dst_sel:DWORD dst_unused:UNUSED_PAD src0_sel:WORD_1 src1_sel:DWORD
	v_fmac_f16_e32 v10, v3, v16
	v_mul_f16_sdwa v16, v45, v18 dst_sel:DWORD dst_unused:UNUSED_PAD src0_sel:WORD_1 src1_sel:DWORD
	v_fma_f16 v3, v3, v34, -v14
	v_add_f16_e32 v14, v38, v21
	v_fmac_f16_e32 v12, v45, v18
	v_add_f16_e32 v18, v7, v38
	v_add_f16_e32 v26, v9, v13
	;; [unrolled: 1-line block ×3, first 2 shown]
	v_fma_f16 v7, -0.5, v14, v7
	v_sub_f16_e32 v14, v9, v13
	v_add_f16_e32 v9, v19, v9
	v_fmac_f16_e32 v19, -0.5, v26
	v_add_f16_e32 v18, v18, v21
	v_sub_f16_e32 v21, v38, v21
	v_fmamk_f16 v26, v14, 0xbaee, v7
	v_fmac_f16_e32 v7, 0x3aee, v14
	v_add_f16_e32 v14, v11, v15
	v_add_f16_e32 v28, v20, v11
	;; [unrolled: 1-line block ×3, first 2 shown]
	v_fmamk_f16 v13, v21, 0x3aee, v19
	v_add_f16_e32 v34, v33, v36
	v_fmac_f16_e32 v20, -0.5, v14
	v_sub_f16_e32 v14, v36, v22
	v_fmac_f16_e32 v33, -0.5, v27
	v_sub_f16_e32 v11, v11, v15
	v_fmac_f16_e32 v19, 0xbaee, v21
	v_add_f16_e32 v15, v28, v15
	v_fmamk_f16 v21, v14, 0x3aee, v20
	v_fmac_f16_e32 v20, 0xbaee, v14
	v_add_f16_e32 v14, v34, v22
	v_fmamk_f16 v22, v11, 0xbaee, v33
	v_fmac_f16_e32 v33, 0x3aee, v11
	v_add_f16_e32 v34, v9, v15
	v_mul_f16_e32 v27, 0xbaee, v20
	v_mul_f16_e32 v20, -0.5, v20
	v_sub_f16_e32 v9, v9, v15
	v_add_f16_e32 v15, v24, v10
	v_lshrrev_b32_e32 v25, 16, v8
	v_fma_f16 v16, v45, v37, -v16
	v_fmac_f16_e32 v20, 0x3aee, v33
	v_mul_f16_e32 v11, 0xbaee, v21
	v_mul_f16_e32 v21, 0.5, v21
	v_add_f16_e32 v28, v18, v14
	v_sub_f16_e32 v14, v18, v14
	v_add_f16_e32 v37, v19, v20
	v_add_f16_e32 v18, v8, v24
	v_sub_f16_e32 v19, v19, v20
	v_add_f16_e32 v20, v1, v3
	v_fmac_f16_e32 v8, -0.5, v15
	v_sub_f16_e32 v15, v1, v3
	v_fmac_f16_e32 v21, 0x3aee, v22
	v_add_f16_e32 v1, v25, v1
	v_fmac_f16_e32 v25, -0.5, v20
	v_add_f16_e32 v18, v18, v10
	v_fmamk_f16 v20, v15, 0xbaee, v8
	v_fmac_f16_e32 v8, 0x3aee, v15
	v_add_f16_e32 v15, v2, v16
	v_add_f16_e32 v36, v13, v21
	v_sub_f16_e32 v13, v13, v21
	v_sub_f16_e32 v10, v24, v10
	v_add_f16_e32 v21, v17, v12
	v_add_f16_e32 v24, v0, v2
	v_fmac_f16_e32 v0, -0.5, v15
	v_sub_f16_e32 v15, v17, v12
	v_add_f16_e32 v1, v1, v3
	v_fmamk_f16 v3, v10, 0x3aee, v25
	v_add_f16_e32 v17, v23, v17
	v_fmac_f16_e32 v23, -0.5, v21
	v_sub_f16_e32 v2, v2, v16
	v_fmac_f16_e32 v25, 0xbaee, v10
	v_fmamk_f16 v10, v15, 0x3aee, v0
	v_fmac_f16_e32 v0, 0xbaee, v15
	v_fmac_f16_e32 v11, 0.5, v22
	v_fmamk_f16 v15, v2, 0xbaee, v23
	v_fmac_f16_e32 v23, 0x3aee, v2
	v_mul_f16_e32 v2, 0xbaee, v10
	v_mul_f16_e32 v10, 0.5, v10
	v_add_f16_e32 v12, v17, v12
	v_mul_f16_e32 v17, 0xbaee, v0
	v_mul_f16_e32 v0, -0.5, v0
	v_fmac_f16_e32 v27, -0.5, v33
	v_add_f16_e32 v22, v26, v11
	v_add_f16_e32 v16, v24, v16
	v_fmac_f16_e32 v10, 0x3aee, v15
	v_fmac_f16_e32 v2, 0.5, v15
	v_fmac_f16_e32 v17, -0.5, v23
	v_fmac_f16_e32 v0, 0x3aee, v23
	v_add_f16_e32 v33, v7, v27
	v_sub_f16_e32 v11, v26, v11
	v_add_f16_e32 v24, v1, v16
	v_add_f16_e32 v26, v3, v10
	v_sub_f16_e32 v1, v1, v16
	v_sub_f16_e32 v3, v3, v10
	v_pack_b32_f16 v10, v28, v34
	v_pack_b32_f16 v16, v22, v36
	v_sub_f16_e32 v7, v7, v27
	v_add_f16_e32 v21, v18, v12
	v_add_f16_e32 v15, v20, v2
	;; [unrolled: 1-line block ×4, first 2 shown]
	v_sub_f16_e32 v12, v18, v12
	v_sub_f16_e32 v2, v20, v2
	;; [unrolled: 1-line block ×4, first 2 shown]
	ds_write2_b32 v35, v10, v16 offset1:51
	v_pack_b32_f16 v10, v33, v37
	v_pack_b32_f16 v9, v14, v9
	;; [unrolled: 1-line block ×10, first 2 shown]
	ds_write2_b32 v35, v10, v9 offset0:102 offset1:153
	ds_write2_b32 v35, v11, v7 offset0:204 offset1:255
	;; [unrolled: 1-line block ×5, first 2 shown]
	s_waitcnt lgkmcnt(0)
	s_barrier
	buffer_gl0_inv
	ds_read2_b32 v[0:1], v35 offset1:51
	ds_read2_b32 v[2:3], v5 offset0:50 offset1:101
	ds_read2_b32 v[7:8], v35 offset0:102 offset1:153
	;; [unrolled: 1-line block ×5, first 2 shown]
	s_waitcnt lgkmcnt(5)
	v_lshrrev_b32_e32 v15, 16, v0
	s_waitcnt lgkmcnt(4)
	v_lshrrev_b32_e32 v16, 16, v2
	v_lshrrev_b32_e32 v18, 16, v3
	s_waitcnt lgkmcnt(2)
	v_lshrrev_b32_e32 v20, 16, v9
	v_mul_f16_sdwa v28, v46, v2 dst_sel:DWORD dst_unused:UNUSED_PAD src0_sel:WORD_1 src1_sel:DWORD
	v_lshrrev_b32_e32 v22, 16, v10
	v_mul_f16_sdwa v24, v46, v16 dst_sel:DWORD dst_unused:UNUSED_PAD src0_sel:WORD_1 src1_sel:DWORD
	v_mul_f16_sdwa v33, v47, v3 dst_sel:DWORD dst_unused:UNUSED_PAD src0_sel:WORD_1 src1_sel:DWORD
	;; [unrolled: 1-line block ×3, first 2 shown]
	v_fma_f16 v16, v46, v16, -v28
	v_mul_f16_sdwa v28, v49, v9 dst_sel:DWORD dst_unused:UNUSED_PAD src0_sel:WORD_1 src1_sel:DWORD
	v_fmac_f16_e32 v24, v46, v2
	v_mul_f16_sdwa v2, v47, v18 dst_sel:DWORD dst_unused:UNUSED_PAD src0_sel:WORD_1 src1_sel:DWORD
	s_waitcnt lgkmcnt(0)
	v_lshrrev_b32_e32 v27, 16, v14
	v_fmac_f16_e32 v34, v49, v9
	v_mul_f16_sdwa v9, v51, v22 dst_sel:DWORD dst_unused:UNUSED_PAD src0_sel:WORD_1 src1_sel:DWORD
	v_lshrrev_b32_e32 v25, 16, v13
	v_fmac_f16_e32 v2, v47, v3
	v_fma_f16 v3, v47, v18, -v33
	v_fma_f16 v18, v49, v20, -v28
	v_mul_f16_sdwa v20, v51, v10 dst_sel:DWORD dst_unused:UNUSED_PAD src0_sel:WORD_1 src1_sel:DWORD
	v_lshrrev_b32_e32 v17, 16, v1
	v_fmac_f16_e32 v9, v51, v10
	v_mul_f16_sdwa v10, v48, v27 dst_sel:DWORD dst_unused:UNUSED_PAD src0_sel:WORD_1 src1_sel:DWORD
	v_mul_f16_sdwa v28, v50, v25 dst_sel:DWORD dst_unused:UNUSED_PAD src0_sel:WORD_1 src1_sel:DWORD
	;; [unrolled: 1-line block ×3, first 2 shown]
	v_fma_f16 v20, v51, v22, -v20
	v_mul_f16_sdwa v22, v48, v14 dst_sel:DWORD dst_unused:UNUSED_PAD src0_sel:WORD_1 src1_sel:DWORD
	v_fmac_f16_e32 v10, v48, v14
	v_sub_f16_e32 v14, v0, v24
	v_sub_f16_e32 v16, v15, v16
	;; [unrolled: 1-line block ×4, first 2 shown]
	v_lshrrev_b32_e32 v19, 16, v7
	v_lshrrev_b32_e32 v21, 16, v8
	;; [unrolled: 1-line block ×4, first 2 shown]
	v_fmac_f16_e32 v28, v50, v13
	v_fma_f16 v13, v50, v25, -v33
	v_fma_f16 v22, v48, v27, -v22
	v_fma_f16 v0, v0, 2.0, -v14
	v_fma_f16 v15, v15, 2.0, -v16
	;; [unrolled: 1-line block ×4, first 2 shown]
	v_sub_f16_e32 v24, v7, v34
	v_sub_f16_e32 v18, v19, v18
	v_sub_f16_e32 v9, v8, v9
	v_sub_f16_e32 v20, v21, v20
	v_sub_f16_e32 v25, v11, v28
	v_sub_f16_e32 v13, v23, v13
	v_sub_f16_e32 v10, v12, v10
	v_sub_f16_e32 v22, v26, v22
	v_pack_b32_f16 v0, v0, v15
	v_pack_b32_f16 v1, v1, v17
	v_fma_f16 v7, v7, 2.0, -v24
	v_fma_f16 v19, v19, 2.0, -v18
	;; [unrolled: 1-line block ×8, first 2 shown]
	v_pack_b32_f16 v14, v14, v16
	ds_write2_b32 v35, v0, v1 offset1:51
	v_pack_b32_f16 v0, v2, v3
	v_pack_b32_f16 v1, v7, v19
	;; [unrolled: 1-line block ×9, first 2 shown]
	ds_write2_b32 v5, v14, v0 offset0:50 offset1:101
	ds_write2_b32 v35, v1, v3 offset0:102 offset1:153
	;; [unrolled: 1-line block ×5, first 2 shown]
	s_waitcnt lgkmcnt(0)
	s_barrier
	buffer_gl0_inv
	s_and_b32 exec_lo, exec_lo, vcc_lo
	s_cbranch_execz .LBB0_15
; %bb.14:
	global_load_dword v0, v30, s[12:13]
	ds_read_b32 v1, v35
	s_mov_b32 s8, 0x1ac5701b
	s_mov_b32 s9, 0x3f5ac570
	v_mad_u64_u32 v[7:8], null, s4, v31, 0
	s_mul_hi_u32 s3, s4, 0x90
	s_waitcnt lgkmcnt(0)
	v_lshrrev_b32_e32 v2, 16, v1
	s_waitcnt vmcnt(0)
	v_mul_f16_sdwa v3, v2, v0 dst_sel:DWORD dst_unused:UNUSED_PAD src0_sel:DWORD src1_sel:WORD_1
	v_mul_f16_sdwa v5, v1, v0 dst_sel:DWORD dst_unused:UNUSED_PAD src0_sel:DWORD src1_sel:WORD_1
	v_fmac_f16_e32 v3, v1, v0
	v_fma_f16 v0, v0, v2, -v5
	v_mad_u64_u32 v[5:6], null, s6, v4, 0
	s_mul_i32 s6, s4, 0x90
	v_cvt_f32_f16_e32 v1, v3
	v_cvt_f32_f16_e32 v2, v0
	v_cvt_f64_f32_e32 v[0:1], v1
	v_cvt_f64_f32_e32 v[2:3], v2
	v_mul_f64 v[0:1], v[0:1], s[8:9]
	v_mul_f64 v[2:3], v[2:3], s[8:9]
	v_and_or_b32 v0, 0x1ff, v1, v0
	v_and_or_b32 v2, 0x1ff, v3, v2
	v_lshrrev_b32_e32 v9, 8, v1
	v_bfe_u32 v11, v1, 20, 11
	v_bfe_u32 v12, v3, 20, 11
	v_cmp_ne_u32_e32 vcc_lo, 0, v0
	v_lshrrev_b32_e32 v10, 8, v3
	v_mov_b32_e32 v0, v8
	v_sub_nc_u32_e32 v14, 0x3f1, v11
	v_sub_nc_u32_e32 v15, 0x3f1, v12
	v_cndmask_b32_e64 v13, 0, 1, vcc_lo
	v_cmp_ne_u32_e32 vcc_lo, 0, v2
	v_add_nc_u32_e32 v11, 0xfffffc10, v11
	v_add_nc_u32_e32 v12, 0xfffffc10, v12
	v_lshrrev_b32_e32 v3, 16, v3
	v_and_or_b32 v13, 0xffe, v9, v13
	v_cndmask_b32_e64 v2, 0, 1, vcc_lo
	v_mad_u64_u32 v[8:9], null, s7, v4, v[6:7]
	v_med3_i32 v4, v14, 0, 13
	v_med3_i32 v14, v15, 0, 13
	v_and_or_b32 v2, 0xffe, v10, v2
	v_or_b32_e32 v15, 0x1000, v13
	v_mad_u64_u32 v[9:10], null, s5, v31, v[0:1]
	v_mov_b32_e32 v6, v8
	v_or_b32_e32 v16, 0x1000, v2
	v_lshrrev_b32_e32 v0, v4, v15
	v_lshrrev_b32_e32 v1, 16, v1
	v_mov_b32_e32 v8, v9
	v_lshrrev_b32_e32 v10, v14, v16
	v_lshlrev_b32_e32 v4, v4, v0
	v_lshlrev_b32_e32 v9, v14, v10
	v_cmp_ne_u32_e32 vcc_lo, v4, v15
	v_lshlrev_b64 v[4:5], 2, v[5:6]
	v_lshl_or_b32 v6, v11, 12, v13
	v_cndmask_b32_e64 v14, 0, 1, vcc_lo
	v_cmp_ne_u32_e32 vcc_lo, v9, v16
	v_or_b32_e32 v0, v0, v14
	v_cndmask_b32_e64 v9, 0, 1, vcc_lo
	v_cmp_gt_i32_e32 vcc_lo, 1, v11
	v_lshl_or_b32 v14, v12, 12, v2
	v_or_b32_e32 v9, v10, v9
	v_cndmask_b32_e32 v0, v6, v0, vcc_lo
	v_cmp_gt_i32_e32 vcc_lo, 1, v12
	v_and_b32_e32 v10, 7, v0
	v_cndmask_b32_e32 v6, v14, v9, vcc_lo
	v_cmp_ne_u32_e32 vcc_lo, 0, v13
	v_lshrrev_b32_e32 v0, 2, v0
	v_cmp_eq_u32_e64 s0, 3, v10
	v_and_b32_e32 v13, 7, v6
	v_cndmask_b32_e64 v9, 0, 1, vcc_lo
	v_cmp_ne_u32_e32 vcc_lo, 0, v2
	v_lshrrev_b32_e32 v6, 2, v6
	v_cmp_lt_i32_e64 s1, 5, v13
	v_cmp_eq_u32_e64 s2, 3, v13
	v_cndmask_b32_e64 v2, 0, 1, vcc_lo
	v_cmp_lt_i32_e32 vcc_lo, 5, v10
	v_lshl_or_b32 v9, v9, 9, 0x7c00
	v_lshl_or_b32 v2, v2, 9, 0x7c00
	s_or_b32 vcc_lo, s0, vcc_lo
	v_add_co_ci_u32_e32 v0, vcc_lo, 0, v0, vcc_lo
	s_or_b32 vcc_lo, s2, s1
	v_add_co_ci_u32_e32 v6, vcc_lo, 0, v6, vcc_lo
	v_cmp_gt_i32_e32 vcc_lo, 31, v11
	v_cndmask_b32_e32 v0, 0x7c00, v0, vcc_lo
	v_cmp_gt_i32_e32 vcc_lo, 31, v12
	v_cndmask_b32_e32 v10, 0x7c00, v6, vcc_lo
	v_cmp_eq_u32_e32 vcc_lo, 0x40f, v11
	v_lshlrev_b64 v[6:7], 2, v[7:8]
	v_cndmask_b32_e32 v0, v0, v9, vcc_lo
	v_cmp_eq_u32_e32 vcc_lo, 0x40f, v12
	v_and_or_b32 v8, 0x8000, v1, v0
	v_cndmask_b32_e32 v2, v10, v2, vcc_lo
	v_add_co_u32 v0, vcc_lo, s14, v4
	v_add_co_ci_u32_e32 v1, vcc_lo, s15, v5, vcc_lo
	v_and_or_b32 v4, 0x8000, v3, v2
	v_and_b32_e32 v5, 0xffff, v8
	v_add_co_u32 v2, vcc_lo, v0, v6
	v_add_co_ci_u32_e32 v3, vcc_lo, v1, v7, vcc_lo
	v_lshl_or_b32 v4, v4, 16, v5
	global_store_dword v[2:3], v4, off
	global_load_dword v6, v30, s[12:13] offset:144
	ds_read2_b32 v[4:5], v32 offset0:36 offset1:72
	s_waitcnt lgkmcnt(0)
	v_lshrrev_b32_e32 v7, 16, v4
	s_waitcnt vmcnt(0)
	v_mul_f16_sdwa v8, v7, v6 dst_sel:DWORD dst_unused:UNUSED_PAD src0_sel:DWORD src1_sel:WORD_1
	v_mul_f16_sdwa v9, v4, v6 dst_sel:DWORD dst_unused:UNUSED_PAD src0_sel:DWORD src1_sel:WORD_1
	v_fmac_f16_e32 v8, v4, v6
	v_fma_f16 v4, v6, v7, -v9
	v_cvt_f32_f16_e32 v6, v8
	v_cvt_f32_f16_e32 v4, v4
	v_cvt_f64_f32_e32 v[6:7], v6
	v_cvt_f64_f32_e32 v[8:9], v4
	v_mul_f64 v[6:7], v[6:7], s[8:9]
	v_mul_f64 v[8:9], v[8:9], s[8:9]
	v_and_or_b32 v4, 0x1ff, v7, v6
	v_and_or_b32 v8, 0x1ff, v9, v8
	v_lshrrev_b32_e32 v6, 8, v7
	v_bfe_u32 v10, v7, 20, 11
	v_lshrrev_b32_e32 v11, 8, v9
	v_cmp_ne_u32_e32 vcc_lo, 0, v4
	v_bfe_u32 v12, v9, 20, 11
	v_lshrrev_b32_e32 v7, 16, v7
	v_sub_nc_u32_e32 v13, 0x3f1, v10
	v_add_nc_u32_e32 v10, 0xfffffc10, v10
	v_cndmask_b32_e64 v4, 0, 1, vcc_lo
	v_cmp_ne_u32_e32 vcc_lo, 0, v8
	v_lshrrev_b32_e32 v9, 16, v9
	v_and_or_b32 v4, 0xffe, v6, v4
	v_cndmask_b32_e64 v8, 0, 1, vcc_lo
	v_sub_nc_u32_e32 v6, 0x3f1, v12
	v_add_nc_u32_e32 v12, 0xfffffc10, v12
	v_and_or_b32 v8, 0xffe, v11, v8
	v_med3_i32 v11, v13, 0, 13
	v_or_b32_e32 v13, 0x1000, v4
	v_med3_i32 v6, v6, 0, 13
	v_or_b32_e32 v14, 0x1000, v8
	v_lshrrev_b32_e32 v15, v11, v13
	v_lshrrev_b32_e32 v16, v6, v14
	v_lshlrev_b32_e32 v11, v11, v15
	v_lshlrev_b32_e32 v6, v6, v16
	v_cmp_ne_u32_e32 vcc_lo, v11, v13
	v_lshl_or_b32 v13, v10, 12, v4
	v_cndmask_b32_e64 v11, 0, 1, vcc_lo
	v_cmp_ne_u32_e32 vcc_lo, v6, v14
	v_lshl_or_b32 v14, v12, 12, v8
	v_or_b32_e32 v11, v15, v11
	v_cndmask_b32_e64 v6, 0, 1, vcc_lo
	v_cmp_gt_i32_e32 vcc_lo, 1, v10
	v_or_b32_e32 v6, v16, v6
	v_cndmask_b32_e32 v11, v13, v11, vcc_lo
	v_cmp_gt_i32_e32 vcc_lo, 1, v12
	v_and_b32_e32 v13, 7, v11
	v_cndmask_b32_e32 v6, v14, v6, vcc_lo
	v_cmp_ne_u32_e32 vcc_lo, 0, v4
	v_lshrrev_b32_e32 v11, 2, v11
	v_cmp_eq_u32_e64 s0, 3, v13
	v_and_b32_e32 v14, 7, v6
	v_cndmask_b32_e64 v4, 0, 1, vcc_lo
	v_cmp_ne_u32_e32 vcc_lo, 0, v8
	v_lshrrev_b32_e32 v6, 2, v6
	v_cmp_lt_i32_e64 s1, 5, v14
	v_cmp_eq_u32_e64 s2, 3, v14
	v_cndmask_b32_e64 v8, 0, 1, vcc_lo
	v_cmp_lt_i32_e32 vcc_lo, 5, v13
	v_lshl_or_b32 v4, v4, 9, 0x7c00
	v_lshl_or_b32 v8, v8, 9, 0x7c00
	s_or_b32 vcc_lo, s0, vcc_lo
	s_mul_i32 s0, s5, 0x90
	v_add_co_ci_u32_e32 v11, vcc_lo, 0, v11, vcc_lo
	s_or_b32 vcc_lo, s2, s1
	s_add_i32 s3, s3, s0
	v_add_co_ci_u32_e32 v6, vcc_lo, 0, v6, vcc_lo
	v_cmp_gt_i32_e32 vcc_lo, 31, v10
	v_cndmask_b32_e32 v11, 0x7c00, v11, vcc_lo
	v_cmp_gt_i32_e32 vcc_lo, 31, v12
	v_cndmask_b32_e32 v6, 0x7c00, v6, vcc_lo
	v_cmp_eq_u32_e32 vcc_lo, 0x40f, v10
	v_cndmask_b32_e32 v4, v11, v4, vcc_lo
	v_cmp_eq_u32_e32 vcc_lo, 0x40f, v12
	v_and_or_b32 v4, 0x8000, v7, v4
	v_cndmask_b32_e32 v6, v6, v8, vcc_lo
	v_add_co_u32 v2, vcc_lo, v2, s6
	v_add_co_ci_u32_e32 v3, vcc_lo, s3, v3, vcc_lo
	v_and_or_b32 v6, 0x8000, v9, v6
	v_and_b32_e32 v4, 0xffff, v4
	v_lshl_or_b32 v4, v6, 16, v4
	v_lshrrev_b32_e32 v6, 16, v5
	global_store_dword v[2:3], v4, off
	global_load_dword v4, v30, s[12:13] offset:288
	s_waitcnt vmcnt(0)
	v_mul_f16_sdwa v7, v6, v4 dst_sel:DWORD dst_unused:UNUSED_PAD src0_sel:DWORD src1_sel:WORD_1
	v_mul_f16_sdwa v8, v5, v4 dst_sel:DWORD dst_unused:UNUSED_PAD src0_sel:DWORD src1_sel:WORD_1
	v_fmac_f16_e32 v7, v5, v4
	v_fma_f16 v4, v4, v6, -v8
	v_cvt_f32_f16_e32 v5, v7
	v_cvt_f32_f16_e32 v6, v4
	v_cvt_f64_f32_e32 v[4:5], v5
	v_cvt_f64_f32_e32 v[6:7], v6
	v_mul_f64 v[4:5], v[4:5], s[8:9]
	v_mul_f64 v[6:7], v[6:7], s[8:9]
	v_and_or_b32 v4, 0x1ff, v5, v4
	v_and_or_b32 v6, 0x1ff, v7, v6
	v_lshrrev_b32_e32 v8, 8, v5
	v_bfe_u32 v9, v5, 20, 11
	v_lshrrev_b32_e32 v10, 8, v7
	v_cmp_ne_u32_e32 vcc_lo, 0, v4
	v_bfe_u32 v11, v7, 20, 11
	v_lshrrev_b32_e32 v5, 16, v5
	v_sub_nc_u32_e32 v12, 0x3f1, v9
	v_add_nc_u32_e32 v9, 0xfffffc10, v9
	v_cndmask_b32_e64 v4, 0, 1, vcc_lo
	v_cmp_ne_u32_e32 vcc_lo, 0, v6
	v_lshrrev_b32_e32 v7, 16, v7
	v_and_or_b32 v4, 0xffe, v8, v4
	v_cndmask_b32_e64 v6, 0, 1, vcc_lo
	v_sub_nc_u32_e32 v8, 0x3f1, v11
	v_add_nc_u32_e32 v11, 0xfffffc10, v11
	v_and_or_b32 v6, 0xffe, v10, v6
	v_med3_i32 v10, v12, 0, 13
	v_or_b32_e32 v12, 0x1000, v4
	v_med3_i32 v8, v8, 0, 13
	v_or_b32_e32 v13, 0x1000, v6
	v_lshrrev_b32_e32 v14, v10, v12
	v_lshrrev_b32_e32 v15, v8, v13
	v_lshlrev_b32_e32 v10, v10, v14
	v_lshlrev_b32_e32 v8, v8, v15
	v_cmp_ne_u32_e32 vcc_lo, v10, v12
	v_lshl_or_b32 v12, v9, 12, v4
	v_cndmask_b32_e64 v10, 0, 1, vcc_lo
	v_cmp_ne_u32_e32 vcc_lo, v8, v13
	v_lshl_or_b32 v13, v11, 12, v6
	v_or_b32_e32 v10, v14, v10
	v_cndmask_b32_e64 v8, 0, 1, vcc_lo
	v_cmp_gt_i32_e32 vcc_lo, 1, v9
	v_or_b32_e32 v8, v15, v8
	v_cndmask_b32_e32 v10, v12, v10, vcc_lo
	v_cmp_gt_i32_e32 vcc_lo, 1, v11
	v_and_b32_e32 v12, 7, v10
	v_cndmask_b32_e32 v8, v13, v8, vcc_lo
	v_cmp_ne_u32_e32 vcc_lo, 0, v4
	v_lshrrev_b32_e32 v10, 2, v10
	v_cmp_eq_u32_e64 s0, 3, v12
	v_and_b32_e32 v13, 7, v8
	v_cndmask_b32_e64 v4, 0, 1, vcc_lo
	v_cmp_ne_u32_e32 vcc_lo, 0, v6
	v_lshrrev_b32_e32 v8, 2, v8
	v_cmp_lt_i32_e64 s1, 5, v13
	v_cmp_eq_u32_e64 s2, 3, v13
	v_cndmask_b32_e64 v6, 0, 1, vcc_lo
	v_cmp_lt_i32_e32 vcc_lo, 5, v12
	v_lshl_or_b32 v4, v4, 9, 0x7c00
	v_lshl_or_b32 v6, v6, 9, 0x7c00
	s_or_b32 vcc_lo, s0, vcc_lo
	v_add_co_ci_u32_e32 v10, vcc_lo, 0, v10, vcc_lo
	s_or_b32 vcc_lo, s2, s1
	v_add_co_ci_u32_e32 v8, vcc_lo, 0, v8, vcc_lo
	v_cmp_gt_i32_e32 vcc_lo, 31, v9
	v_cndmask_b32_e32 v10, 0x7c00, v10, vcc_lo
	v_cmp_gt_i32_e32 vcc_lo, 31, v11
	v_cndmask_b32_e32 v8, 0x7c00, v8, vcc_lo
	v_cmp_eq_u32_e32 vcc_lo, 0x40f, v9
	v_cndmask_b32_e32 v4, v10, v4, vcc_lo
	v_cmp_eq_u32_e32 vcc_lo, 0x40f, v11
	v_and_or_b32 v4, 0x8000, v5, v4
	v_cndmask_b32_e32 v6, v8, v6, vcc_lo
	v_add_co_u32 v2, vcc_lo, v2, s6
	v_add_co_ci_u32_e32 v3, vcc_lo, s3, v3, vcc_lo
	v_and_or_b32 v5, 0x8000, v7, v6
	v_and_b32_e32 v4, 0xffff, v4
	v_lshl_or_b32 v4, v5, 16, v4
	global_store_dword v[2:3], v4, off
	global_load_dword v6, v30, s[12:13] offset:432
	ds_read2_b32 v[4:5], v32 offset0:108 offset1:144
	s_waitcnt lgkmcnt(0)
	v_lshrrev_b32_e32 v7, 16, v4
	s_waitcnt vmcnt(0)
	v_mul_f16_sdwa v8, v7, v6 dst_sel:DWORD dst_unused:UNUSED_PAD src0_sel:DWORD src1_sel:WORD_1
	v_mul_f16_sdwa v9, v4, v6 dst_sel:DWORD dst_unused:UNUSED_PAD src0_sel:DWORD src1_sel:WORD_1
	v_fmac_f16_e32 v8, v4, v6
	v_fma_f16 v4, v6, v7, -v9
	v_cvt_f32_f16_e32 v6, v8
	v_cvt_f32_f16_e32 v4, v4
	v_cvt_f64_f32_e32 v[6:7], v6
	v_cvt_f64_f32_e32 v[8:9], v4
	v_mul_f64 v[6:7], v[6:7], s[8:9]
	v_mul_f64 v[8:9], v[8:9], s[8:9]
	v_and_or_b32 v4, 0x1ff, v7, v6
	v_and_or_b32 v8, 0x1ff, v9, v8
	v_lshrrev_b32_e32 v6, 8, v7
	v_bfe_u32 v10, v7, 20, 11
	v_lshrrev_b32_e32 v11, 8, v9
	v_cmp_ne_u32_e32 vcc_lo, 0, v4
	v_bfe_u32 v12, v9, 20, 11
	v_lshrrev_b32_e32 v7, 16, v7
	v_sub_nc_u32_e32 v13, 0x3f1, v10
	v_add_nc_u32_e32 v10, 0xfffffc10, v10
	v_cndmask_b32_e64 v4, 0, 1, vcc_lo
	v_cmp_ne_u32_e32 vcc_lo, 0, v8
	v_lshrrev_b32_e32 v9, 16, v9
	v_and_or_b32 v4, 0xffe, v6, v4
	v_cndmask_b32_e64 v8, 0, 1, vcc_lo
	v_sub_nc_u32_e32 v6, 0x3f1, v12
	v_add_nc_u32_e32 v12, 0xfffffc10, v12
	v_and_or_b32 v8, 0xffe, v11, v8
	v_med3_i32 v11, v13, 0, 13
	v_or_b32_e32 v13, 0x1000, v4
	v_med3_i32 v6, v6, 0, 13
	v_or_b32_e32 v14, 0x1000, v8
	v_lshrrev_b32_e32 v15, v11, v13
	v_lshrrev_b32_e32 v16, v6, v14
	v_lshlrev_b32_e32 v11, v11, v15
	v_lshlrev_b32_e32 v6, v6, v16
	v_cmp_ne_u32_e32 vcc_lo, v11, v13
	v_lshl_or_b32 v13, v10, 12, v4
	v_cndmask_b32_e64 v11, 0, 1, vcc_lo
	v_cmp_ne_u32_e32 vcc_lo, v6, v14
	v_lshl_or_b32 v14, v12, 12, v8
	v_or_b32_e32 v11, v15, v11
	v_cndmask_b32_e64 v6, 0, 1, vcc_lo
	v_cmp_gt_i32_e32 vcc_lo, 1, v10
	v_or_b32_e32 v6, v16, v6
	v_cndmask_b32_e32 v11, v13, v11, vcc_lo
	v_cmp_gt_i32_e32 vcc_lo, 1, v12
	v_and_b32_e32 v13, 7, v11
	v_cndmask_b32_e32 v6, v14, v6, vcc_lo
	v_cmp_ne_u32_e32 vcc_lo, 0, v4
	v_lshrrev_b32_e32 v11, 2, v11
	v_cmp_eq_u32_e64 s0, 3, v13
	v_and_b32_e32 v14, 7, v6
	v_cndmask_b32_e64 v4, 0, 1, vcc_lo
	v_cmp_ne_u32_e32 vcc_lo, 0, v8
	v_lshrrev_b32_e32 v6, 2, v6
	v_cmp_lt_i32_e64 s1, 5, v14
	v_cmp_eq_u32_e64 s2, 3, v14
	v_cndmask_b32_e64 v8, 0, 1, vcc_lo
	v_cmp_lt_i32_e32 vcc_lo, 5, v13
	v_lshl_or_b32 v4, v4, 9, 0x7c00
	v_lshl_or_b32 v8, v8, 9, 0x7c00
	s_or_b32 vcc_lo, s0, vcc_lo
	v_add_co_ci_u32_e32 v11, vcc_lo, 0, v11, vcc_lo
	s_or_b32 vcc_lo, s2, s1
	v_add_co_ci_u32_e32 v6, vcc_lo, 0, v6, vcc_lo
	v_cmp_gt_i32_e32 vcc_lo, 31, v10
	v_cndmask_b32_e32 v11, 0x7c00, v11, vcc_lo
	v_cmp_gt_i32_e32 vcc_lo, 31, v12
	v_cndmask_b32_e32 v6, 0x7c00, v6, vcc_lo
	v_cmp_eq_u32_e32 vcc_lo, 0x40f, v10
	v_cndmask_b32_e32 v4, v11, v4, vcc_lo
	v_cmp_eq_u32_e32 vcc_lo, 0x40f, v12
	v_and_or_b32 v4, 0x8000, v7, v4
	v_cndmask_b32_e32 v6, v6, v8, vcc_lo
	v_add_co_u32 v2, vcc_lo, v2, s6
	v_add_co_ci_u32_e32 v3, vcc_lo, s3, v3, vcc_lo
	v_and_or_b32 v6, 0x8000, v9, v6
	v_and_b32_e32 v4, 0xffff, v4
	v_lshl_or_b32 v4, v6, 16, v4
	v_lshrrev_b32_e32 v6, 16, v5
	global_store_dword v[2:3], v4, off
	global_load_dword v4, v30, s[12:13] offset:576
	s_waitcnt vmcnt(0)
	v_mul_f16_sdwa v7, v6, v4 dst_sel:DWORD dst_unused:UNUSED_PAD src0_sel:DWORD src1_sel:WORD_1
	v_mul_f16_sdwa v8, v5, v4 dst_sel:DWORD dst_unused:UNUSED_PAD src0_sel:DWORD src1_sel:WORD_1
	v_fmac_f16_e32 v7, v5, v4
	v_fma_f16 v4, v4, v6, -v8
	v_cvt_f32_f16_e32 v5, v7
	v_cvt_f32_f16_e32 v6, v4
	v_cvt_f64_f32_e32 v[4:5], v5
	v_cvt_f64_f32_e32 v[6:7], v6
	v_mul_f64 v[4:5], v[4:5], s[8:9]
	v_mul_f64 v[6:7], v[6:7], s[8:9]
	v_and_or_b32 v4, 0x1ff, v5, v4
	v_and_or_b32 v6, 0x1ff, v7, v6
	v_lshrrev_b32_e32 v8, 8, v5
	v_bfe_u32 v9, v5, 20, 11
	v_lshrrev_b32_e32 v10, 8, v7
	v_cmp_ne_u32_e32 vcc_lo, 0, v4
	v_bfe_u32 v11, v7, 20, 11
	v_lshrrev_b32_e32 v5, 16, v5
	v_sub_nc_u32_e32 v12, 0x3f1, v9
	v_add_nc_u32_e32 v9, 0xfffffc10, v9
	v_cndmask_b32_e64 v4, 0, 1, vcc_lo
	v_cmp_ne_u32_e32 vcc_lo, 0, v6
	v_lshrrev_b32_e32 v7, 16, v7
	v_and_or_b32 v4, 0xffe, v8, v4
	v_cndmask_b32_e64 v6, 0, 1, vcc_lo
	v_sub_nc_u32_e32 v8, 0x3f1, v11
	v_add_nc_u32_e32 v11, 0xfffffc10, v11
	v_and_or_b32 v6, 0xffe, v10, v6
	v_med3_i32 v10, v12, 0, 13
	v_or_b32_e32 v12, 0x1000, v4
	v_med3_i32 v8, v8, 0, 13
	v_or_b32_e32 v13, 0x1000, v6
	v_lshrrev_b32_e32 v14, v10, v12
	v_lshrrev_b32_e32 v15, v8, v13
	v_lshlrev_b32_e32 v10, v10, v14
	v_lshlrev_b32_e32 v8, v8, v15
	v_cmp_ne_u32_e32 vcc_lo, v10, v12
	v_lshl_or_b32 v12, v9, 12, v4
	v_cndmask_b32_e64 v10, 0, 1, vcc_lo
	v_cmp_ne_u32_e32 vcc_lo, v8, v13
	v_lshl_or_b32 v13, v11, 12, v6
	v_or_b32_e32 v10, v14, v10
	v_cndmask_b32_e64 v8, 0, 1, vcc_lo
	v_cmp_gt_i32_e32 vcc_lo, 1, v9
	v_or_b32_e32 v8, v15, v8
	v_cndmask_b32_e32 v10, v12, v10, vcc_lo
	v_cmp_gt_i32_e32 vcc_lo, 1, v11
	v_and_b32_e32 v12, 7, v10
	v_cndmask_b32_e32 v8, v13, v8, vcc_lo
	v_cmp_ne_u32_e32 vcc_lo, 0, v4
	v_lshrrev_b32_e32 v10, 2, v10
	v_cmp_eq_u32_e64 s0, 3, v12
	v_and_b32_e32 v13, 7, v8
	v_cndmask_b32_e64 v4, 0, 1, vcc_lo
	v_cmp_ne_u32_e32 vcc_lo, 0, v6
	v_lshrrev_b32_e32 v8, 2, v8
	v_cmp_lt_i32_e64 s1, 5, v13
	v_cmp_eq_u32_e64 s2, 3, v13
	v_cndmask_b32_e64 v6, 0, 1, vcc_lo
	v_cmp_lt_i32_e32 vcc_lo, 5, v12
	v_lshl_or_b32 v4, v4, 9, 0x7c00
	v_lshl_or_b32 v6, v6, 9, 0x7c00
	s_or_b32 vcc_lo, s0, vcc_lo
	v_add_co_ci_u32_e32 v10, vcc_lo, 0, v10, vcc_lo
	s_or_b32 vcc_lo, s2, s1
	v_add_co_ci_u32_e32 v8, vcc_lo, 0, v8, vcc_lo
	v_cmp_gt_i32_e32 vcc_lo, 31, v9
	v_cndmask_b32_e32 v10, 0x7c00, v10, vcc_lo
	v_cmp_gt_i32_e32 vcc_lo, 31, v11
	v_cndmask_b32_e32 v8, 0x7c00, v8, vcc_lo
	v_cmp_eq_u32_e32 vcc_lo, 0x40f, v9
	v_cndmask_b32_e32 v4, v10, v4, vcc_lo
	v_cmp_eq_u32_e32 vcc_lo, 0x40f, v11
	v_and_or_b32 v4, 0x8000, v5, v4
	v_cndmask_b32_e32 v6, v8, v6, vcc_lo
	v_add_co_u32 v2, vcc_lo, v2, s6
	v_add_co_ci_u32_e32 v3, vcc_lo, s3, v3, vcc_lo
	v_and_or_b32 v5, 0x8000, v7, v6
	v_and_b32_e32 v4, 0xffff, v4
	v_lshl_or_b32 v4, v5, 16, v4
	global_store_dword v[2:3], v4, off
	global_load_dword v6, v30, s[12:13] offset:720
	ds_read2_b32 v[4:5], v32 offset0:180 offset1:216
	s_waitcnt lgkmcnt(0)
	v_lshrrev_b32_e32 v7, 16, v4
	s_waitcnt vmcnt(0)
	v_mul_f16_sdwa v8, v7, v6 dst_sel:DWORD dst_unused:UNUSED_PAD src0_sel:DWORD src1_sel:WORD_1
	v_mul_f16_sdwa v9, v4, v6 dst_sel:DWORD dst_unused:UNUSED_PAD src0_sel:DWORD src1_sel:WORD_1
	v_fmac_f16_e32 v8, v4, v6
	v_fma_f16 v4, v6, v7, -v9
	v_cvt_f32_f16_e32 v6, v8
	v_cvt_f32_f16_e32 v4, v4
	v_cvt_f64_f32_e32 v[6:7], v6
	v_cvt_f64_f32_e32 v[8:9], v4
	v_mul_f64 v[6:7], v[6:7], s[8:9]
	v_mul_f64 v[8:9], v[8:9], s[8:9]
	v_and_or_b32 v4, 0x1ff, v7, v6
	v_and_or_b32 v8, 0x1ff, v9, v8
	v_lshrrev_b32_e32 v6, 8, v7
	v_bfe_u32 v10, v7, 20, 11
	v_lshrrev_b32_e32 v11, 8, v9
	v_cmp_ne_u32_e32 vcc_lo, 0, v4
	v_bfe_u32 v12, v9, 20, 11
	v_lshrrev_b32_e32 v7, 16, v7
	v_sub_nc_u32_e32 v13, 0x3f1, v10
	v_add_nc_u32_e32 v10, 0xfffffc10, v10
	v_cndmask_b32_e64 v4, 0, 1, vcc_lo
	v_cmp_ne_u32_e32 vcc_lo, 0, v8
	v_lshrrev_b32_e32 v9, 16, v9
	v_and_or_b32 v4, 0xffe, v6, v4
	v_cndmask_b32_e64 v8, 0, 1, vcc_lo
	v_sub_nc_u32_e32 v6, 0x3f1, v12
	v_add_nc_u32_e32 v12, 0xfffffc10, v12
	v_and_or_b32 v8, 0xffe, v11, v8
	v_med3_i32 v11, v13, 0, 13
	v_or_b32_e32 v13, 0x1000, v4
	v_med3_i32 v6, v6, 0, 13
	v_or_b32_e32 v14, 0x1000, v8
	v_lshrrev_b32_e32 v15, v11, v13
	v_lshrrev_b32_e32 v16, v6, v14
	v_lshlrev_b32_e32 v11, v11, v15
	v_lshlrev_b32_e32 v6, v6, v16
	v_cmp_ne_u32_e32 vcc_lo, v11, v13
	v_lshl_or_b32 v13, v10, 12, v4
	v_cndmask_b32_e64 v11, 0, 1, vcc_lo
	v_cmp_ne_u32_e32 vcc_lo, v6, v14
	v_lshl_or_b32 v14, v12, 12, v8
	v_or_b32_e32 v11, v15, v11
	v_cndmask_b32_e64 v6, 0, 1, vcc_lo
	v_cmp_gt_i32_e32 vcc_lo, 1, v10
	v_or_b32_e32 v6, v16, v6
	v_cndmask_b32_e32 v11, v13, v11, vcc_lo
	v_cmp_gt_i32_e32 vcc_lo, 1, v12
	v_and_b32_e32 v13, 7, v11
	v_cndmask_b32_e32 v6, v14, v6, vcc_lo
	v_cmp_ne_u32_e32 vcc_lo, 0, v4
	v_lshrrev_b32_e32 v11, 2, v11
	v_cmp_eq_u32_e64 s0, 3, v13
	v_and_b32_e32 v14, 7, v6
	v_cndmask_b32_e64 v4, 0, 1, vcc_lo
	v_cmp_ne_u32_e32 vcc_lo, 0, v8
	v_lshrrev_b32_e32 v6, 2, v6
	v_cmp_lt_i32_e64 s1, 5, v14
	v_cmp_eq_u32_e64 s2, 3, v14
	v_cndmask_b32_e64 v8, 0, 1, vcc_lo
	v_cmp_lt_i32_e32 vcc_lo, 5, v13
	v_lshl_or_b32 v4, v4, 9, 0x7c00
	v_lshl_or_b32 v8, v8, 9, 0x7c00
	s_or_b32 vcc_lo, s0, vcc_lo
	v_add_co_ci_u32_e32 v11, vcc_lo, 0, v11, vcc_lo
	s_or_b32 vcc_lo, s2, s1
	v_add_co_ci_u32_e32 v6, vcc_lo, 0, v6, vcc_lo
	v_cmp_gt_i32_e32 vcc_lo, 31, v10
	v_cndmask_b32_e32 v11, 0x7c00, v11, vcc_lo
	v_cmp_gt_i32_e32 vcc_lo, 31, v12
	v_cndmask_b32_e32 v6, 0x7c00, v6, vcc_lo
	v_cmp_eq_u32_e32 vcc_lo, 0x40f, v10
	v_cndmask_b32_e32 v4, v11, v4, vcc_lo
	v_cmp_eq_u32_e32 vcc_lo, 0x40f, v12
	v_and_or_b32 v4, 0x8000, v7, v4
	v_cndmask_b32_e32 v6, v6, v8, vcc_lo
	v_add_co_u32 v2, vcc_lo, v2, s6
	v_add_co_ci_u32_e32 v3, vcc_lo, s3, v3, vcc_lo
	v_and_or_b32 v6, 0x8000, v9, v6
	v_and_b32_e32 v4, 0xffff, v4
	v_lshl_or_b32 v4, v6, 16, v4
	v_lshrrev_b32_e32 v6, 16, v5
	global_store_dword v[2:3], v4, off
	global_load_dword v4, v30, s[12:13] offset:864
	s_waitcnt vmcnt(0)
	v_mul_f16_sdwa v7, v6, v4 dst_sel:DWORD dst_unused:UNUSED_PAD src0_sel:DWORD src1_sel:WORD_1
	v_mul_f16_sdwa v8, v5, v4 dst_sel:DWORD dst_unused:UNUSED_PAD src0_sel:DWORD src1_sel:WORD_1
	v_fmac_f16_e32 v7, v5, v4
	v_fma_f16 v4, v4, v6, -v8
	v_cvt_f32_f16_e32 v5, v7
	v_cvt_f32_f16_e32 v6, v4
	v_cvt_f64_f32_e32 v[4:5], v5
	v_cvt_f64_f32_e32 v[6:7], v6
	v_mul_f64 v[4:5], v[4:5], s[8:9]
	v_mul_f64 v[6:7], v[6:7], s[8:9]
	v_and_or_b32 v4, 0x1ff, v5, v4
	v_and_or_b32 v6, 0x1ff, v7, v6
	v_lshrrev_b32_e32 v8, 8, v5
	v_bfe_u32 v9, v5, 20, 11
	v_lshrrev_b32_e32 v10, 8, v7
	v_cmp_ne_u32_e32 vcc_lo, 0, v4
	v_bfe_u32 v11, v7, 20, 11
	v_lshrrev_b32_e32 v5, 16, v5
	v_sub_nc_u32_e32 v12, 0x3f1, v9
	v_add_nc_u32_e32 v9, 0xfffffc10, v9
	v_cndmask_b32_e64 v4, 0, 1, vcc_lo
	v_cmp_ne_u32_e32 vcc_lo, 0, v6
	v_lshrrev_b32_e32 v7, 16, v7
	v_and_or_b32 v4, 0xffe, v8, v4
	v_cndmask_b32_e64 v6, 0, 1, vcc_lo
	v_sub_nc_u32_e32 v8, 0x3f1, v11
	v_add_nc_u32_e32 v11, 0xfffffc10, v11
	v_and_or_b32 v6, 0xffe, v10, v6
	v_med3_i32 v10, v12, 0, 13
	v_or_b32_e32 v12, 0x1000, v4
	v_med3_i32 v8, v8, 0, 13
	v_or_b32_e32 v13, 0x1000, v6
	v_lshrrev_b32_e32 v14, v10, v12
	v_lshrrev_b32_e32 v15, v8, v13
	v_lshlrev_b32_e32 v10, v10, v14
	v_lshlrev_b32_e32 v8, v8, v15
	v_cmp_ne_u32_e32 vcc_lo, v10, v12
	v_lshl_or_b32 v12, v9, 12, v4
	v_cndmask_b32_e64 v10, 0, 1, vcc_lo
	v_cmp_ne_u32_e32 vcc_lo, v8, v13
	v_lshl_or_b32 v13, v11, 12, v6
	v_or_b32_e32 v10, v14, v10
	v_cndmask_b32_e64 v8, 0, 1, vcc_lo
	v_cmp_gt_i32_e32 vcc_lo, 1, v9
	v_or_b32_e32 v8, v15, v8
	v_cndmask_b32_e32 v10, v12, v10, vcc_lo
	v_cmp_gt_i32_e32 vcc_lo, 1, v11
	v_and_b32_e32 v12, 7, v10
	v_cndmask_b32_e32 v8, v13, v8, vcc_lo
	v_cmp_ne_u32_e32 vcc_lo, 0, v4
	v_lshrrev_b32_e32 v10, 2, v10
	v_cmp_eq_u32_e64 s0, 3, v12
	v_and_b32_e32 v13, 7, v8
	v_cndmask_b32_e64 v4, 0, 1, vcc_lo
	v_cmp_ne_u32_e32 vcc_lo, 0, v6
	v_lshrrev_b32_e32 v8, 2, v8
	v_cmp_lt_i32_e64 s1, 5, v13
	v_cmp_eq_u32_e64 s2, 3, v13
	v_cndmask_b32_e64 v6, 0, 1, vcc_lo
	v_cmp_lt_i32_e32 vcc_lo, 5, v12
	v_lshl_or_b32 v4, v4, 9, 0x7c00
	v_lshl_or_b32 v6, v6, 9, 0x7c00
	s_or_b32 vcc_lo, s0, vcc_lo
	v_add_co_ci_u32_e32 v10, vcc_lo, 0, v10, vcc_lo
	s_or_b32 vcc_lo, s2, s1
	v_add_co_ci_u32_e32 v8, vcc_lo, 0, v8, vcc_lo
	v_cmp_gt_i32_e32 vcc_lo, 31, v9
	v_cndmask_b32_e32 v10, 0x7c00, v10, vcc_lo
	v_cmp_gt_i32_e32 vcc_lo, 31, v11
	v_cndmask_b32_e32 v8, 0x7c00, v8, vcc_lo
	v_cmp_eq_u32_e32 vcc_lo, 0x40f, v9
	v_cndmask_b32_e32 v4, v10, v4, vcc_lo
	v_cmp_eq_u32_e32 vcc_lo, 0x40f, v11
	v_and_or_b32 v4, 0x8000, v5, v4
	v_cndmask_b32_e32 v6, v8, v6, vcc_lo
	v_add_co_u32 v2, vcc_lo, v2, s6
	v_add_co_ci_u32_e32 v3, vcc_lo, s3, v3, vcc_lo
	v_and_or_b32 v5, 0x8000, v7, v6
	v_and_b32_e32 v4, 0xffff, v4
	v_lshl_or_b32 v4, v5, 16, v4
	global_store_dword v[2:3], v4, off
	global_load_dword v6, v30, s[12:13] offset:1008
	v_add_nc_u32_e32 v4, 0x200, v32
	ds_read2_b32 v[4:5], v4 offset0:124 offset1:160
	s_waitcnt lgkmcnt(0)
	v_lshrrev_b32_e32 v7, 16, v4
	s_waitcnt vmcnt(0)
	v_mul_f16_sdwa v8, v7, v6 dst_sel:DWORD dst_unused:UNUSED_PAD src0_sel:DWORD src1_sel:WORD_1
	v_mul_f16_sdwa v9, v4, v6 dst_sel:DWORD dst_unused:UNUSED_PAD src0_sel:DWORD src1_sel:WORD_1
	v_fmac_f16_e32 v8, v4, v6
	v_fma_f16 v4, v6, v7, -v9
	v_cvt_f32_f16_e32 v6, v8
	v_cvt_f32_f16_e32 v4, v4
	v_cvt_f64_f32_e32 v[6:7], v6
	v_cvt_f64_f32_e32 v[8:9], v4
	v_mul_f64 v[6:7], v[6:7], s[8:9]
	v_mul_f64 v[8:9], v[8:9], s[8:9]
	v_and_or_b32 v4, 0x1ff, v7, v6
	v_and_or_b32 v8, 0x1ff, v9, v8
	v_lshrrev_b32_e32 v6, 8, v7
	v_bfe_u32 v10, v7, 20, 11
	v_lshrrev_b32_e32 v11, 8, v9
	v_cmp_ne_u32_e32 vcc_lo, 0, v4
	v_bfe_u32 v12, v9, 20, 11
	v_lshrrev_b32_e32 v7, 16, v7
	v_sub_nc_u32_e32 v13, 0x3f1, v10
	v_add_nc_u32_e32 v10, 0xfffffc10, v10
	v_cndmask_b32_e64 v4, 0, 1, vcc_lo
	v_cmp_ne_u32_e32 vcc_lo, 0, v8
	v_lshrrev_b32_e32 v9, 16, v9
	v_and_or_b32 v4, 0xffe, v6, v4
	v_cndmask_b32_e64 v8, 0, 1, vcc_lo
	v_sub_nc_u32_e32 v6, 0x3f1, v12
	v_add_nc_u32_e32 v12, 0xfffffc10, v12
	v_and_or_b32 v8, 0xffe, v11, v8
	v_med3_i32 v11, v13, 0, 13
	v_or_b32_e32 v13, 0x1000, v4
	v_med3_i32 v6, v6, 0, 13
	v_or_b32_e32 v14, 0x1000, v8
	v_lshrrev_b32_e32 v15, v11, v13
	v_lshrrev_b32_e32 v16, v6, v14
	v_lshlrev_b32_e32 v11, v11, v15
	v_lshlrev_b32_e32 v6, v6, v16
	v_cmp_ne_u32_e32 vcc_lo, v11, v13
	v_lshl_or_b32 v13, v10, 12, v4
	v_cndmask_b32_e64 v11, 0, 1, vcc_lo
	v_cmp_ne_u32_e32 vcc_lo, v6, v14
	v_lshl_or_b32 v14, v12, 12, v8
	v_or_b32_e32 v11, v15, v11
	v_cndmask_b32_e64 v6, 0, 1, vcc_lo
	v_cmp_gt_i32_e32 vcc_lo, 1, v10
	v_or_b32_e32 v6, v16, v6
	v_cndmask_b32_e32 v11, v13, v11, vcc_lo
	v_cmp_gt_i32_e32 vcc_lo, 1, v12
	v_and_b32_e32 v13, 7, v11
	v_cndmask_b32_e32 v6, v14, v6, vcc_lo
	v_cmp_ne_u32_e32 vcc_lo, 0, v4
	v_lshrrev_b32_e32 v11, 2, v11
	v_cmp_eq_u32_e64 s0, 3, v13
	v_and_b32_e32 v14, 7, v6
	v_cndmask_b32_e64 v4, 0, 1, vcc_lo
	v_cmp_ne_u32_e32 vcc_lo, 0, v8
	v_lshrrev_b32_e32 v6, 2, v6
	v_cmp_lt_i32_e64 s1, 5, v14
	v_cmp_eq_u32_e64 s2, 3, v14
	v_cndmask_b32_e64 v8, 0, 1, vcc_lo
	v_cmp_lt_i32_e32 vcc_lo, 5, v13
	v_lshl_or_b32 v4, v4, 9, 0x7c00
	v_lshl_or_b32 v8, v8, 9, 0x7c00
	s_or_b32 vcc_lo, s0, vcc_lo
	v_add_co_ci_u32_e32 v11, vcc_lo, 0, v11, vcc_lo
	s_or_b32 vcc_lo, s2, s1
	v_add_co_ci_u32_e32 v6, vcc_lo, 0, v6, vcc_lo
	v_cmp_gt_i32_e32 vcc_lo, 31, v10
	v_cndmask_b32_e32 v11, 0x7c00, v11, vcc_lo
	v_cmp_gt_i32_e32 vcc_lo, 31, v12
	v_cndmask_b32_e32 v6, 0x7c00, v6, vcc_lo
	v_cmp_eq_u32_e32 vcc_lo, 0x40f, v10
	v_cndmask_b32_e32 v4, v11, v4, vcc_lo
	v_cmp_eq_u32_e32 vcc_lo, 0x40f, v12
	v_and_or_b32 v4, 0x8000, v7, v4
	v_cndmask_b32_e32 v6, v6, v8, vcc_lo
	v_add_co_u32 v2, vcc_lo, v2, s6
	v_add_co_ci_u32_e32 v3, vcc_lo, s3, v3, vcc_lo
	v_and_or_b32 v6, 0x8000, v9, v6
	v_and_b32_e32 v4, 0xffff, v4
	v_lshl_or_b32 v4, v6, 16, v4
	v_lshrrev_b32_e32 v6, 16, v5
	global_store_dword v[2:3], v4, off
	global_load_dword v4, v30, s[12:13] offset:1152
	s_waitcnt vmcnt(0)
	v_mul_f16_sdwa v7, v6, v4 dst_sel:DWORD dst_unused:UNUSED_PAD src0_sel:DWORD src1_sel:WORD_1
	v_mul_f16_sdwa v8, v5, v4 dst_sel:DWORD dst_unused:UNUSED_PAD src0_sel:DWORD src1_sel:WORD_1
	v_fmac_f16_e32 v7, v5, v4
	v_fma_f16 v4, v4, v6, -v8
	v_cvt_f32_f16_e32 v5, v7
	v_cvt_f32_f16_e32 v6, v4
	v_cvt_f64_f32_e32 v[4:5], v5
	v_cvt_f64_f32_e32 v[6:7], v6
	v_mul_f64 v[4:5], v[4:5], s[8:9]
	v_mul_f64 v[6:7], v[6:7], s[8:9]
	v_and_or_b32 v4, 0x1ff, v5, v4
	v_and_or_b32 v6, 0x1ff, v7, v6
	v_lshrrev_b32_e32 v8, 8, v5
	v_bfe_u32 v9, v5, 20, 11
	v_lshrrev_b32_e32 v10, 8, v7
	v_cmp_ne_u32_e32 vcc_lo, 0, v4
	v_bfe_u32 v11, v7, 20, 11
	v_lshrrev_b32_e32 v5, 16, v5
	v_sub_nc_u32_e32 v12, 0x3f1, v9
	v_add_nc_u32_e32 v9, 0xfffffc10, v9
	v_cndmask_b32_e64 v4, 0, 1, vcc_lo
	v_cmp_ne_u32_e32 vcc_lo, 0, v6
	v_lshrrev_b32_e32 v7, 16, v7
	v_and_or_b32 v4, 0xffe, v8, v4
	v_cndmask_b32_e64 v6, 0, 1, vcc_lo
	v_sub_nc_u32_e32 v8, 0x3f1, v11
	v_add_nc_u32_e32 v11, 0xfffffc10, v11
	v_and_or_b32 v6, 0xffe, v10, v6
	v_med3_i32 v10, v12, 0, 13
	v_or_b32_e32 v12, 0x1000, v4
	v_med3_i32 v8, v8, 0, 13
	v_or_b32_e32 v13, 0x1000, v6
	v_lshrrev_b32_e32 v14, v10, v12
	v_lshrrev_b32_e32 v15, v8, v13
	v_lshlrev_b32_e32 v10, v10, v14
	v_lshlrev_b32_e32 v8, v8, v15
	v_cmp_ne_u32_e32 vcc_lo, v10, v12
	v_lshl_or_b32 v12, v9, 12, v4
	v_cndmask_b32_e64 v10, 0, 1, vcc_lo
	v_cmp_ne_u32_e32 vcc_lo, v8, v13
	v_lshl_or_b32 v13, v11, 12, v6
	v_or_b32_e32 v10, v14, v10
	v_cndmask_b32_e64 v8, 0, 1, vcc_lo
	v_cmp_gt_i32_e32 vcc_lo, 1, v9
	v_or_b32_e32 v8, v15, v8
	v_cndmask_b32_e32 v10, v12, v10, vcc_lo
	v_cmp_gt_i32_e32 vcc_lo, 1, v11
	v_and_b32_e32 v12, 7, v10
	v_cndmask_b32_e32 v8, v13, v8, vcc_lo
	v_cmp_ne_u32_e32 vcc_lo, 0, v4
	v_lshrrev_b32_e32 v10, 2, v10
	v_cmp_eq_u32_e64 s0, 3, v12
	v_and_b32_e32 v13, 7, v8
	v_cndmask_b32_e64 v4, 0, 1, vcc_lo
	v_cmp_ne_u32_e32 vcc_lo, 0, v6
	v_lshrrev_b32_e32 v8, 2, v8
	v_cmp_lt_i32_e64 s1, 5, v13
	v_cmp_eq_u32_e64 s2, 3, v13
	v_cndmask_b32_e64 v6, 0, 1, vcc_lo
	v_cmp_lt_i32_e32 vcc_lo, 5, v12
	v_lshl_or_b32 v4, v4, 9, 0x7c00
	v_lshl_or_b32 v6, v6, 9, 0x7c00
	s_or_b32 vcc_lo, s0, vcc_lo
	v_add_co_ci_u32_e32 v10, vcc_lo, 0, v10, vcc_lo
	s_or_b32 vcc_lo, s2, s1
	v_add_co_ci_u32_e32 v8, vcc_lo, 0, v8, vcc_lo
	v_cmp_gt_i32_e32 vcc_lo, 31, v9
	v_cndmask_b32_e32 v10, 0x7c00, v10, vcc_lo
	v_cmp_gt_i32_e32 vcc_lo, 31, v11
	v_cndmask_b32_e32 v8, 0x7c00, v8, vcc_lo
	v_cmp_eq_u32_e32 vcc_lo, 0x40f, v9
	v_cndmask_b32_e32 v4, v10, v4, vcc_lo
	v_cmp_eq_u32_e32 vcc_lo, 0x40f, v11
	v_and_or_b32 v4, 0x8000, v5, v4
	v_cndmask_b32_e32 v6, v8, v6, vcc_lo
	v_and_or_b32 v6, 0x8000, v7, v6
	v_and_b32_e32 v7, 0xffff, v4
	v_add_co_u32 v4, vcc_lo, v2, s6
	v_add_co_ci_u32_e32 v5, vcc_lo, s3, v3, vcc_lo
	v_lshl_or_b32 v2, v6, 16, v7
	global_store_dword v[4:5], v2, off
	global_load_dword v3, v30, s[12:13] offset:1296
	v_add_nc_u32_e32 v2, 0x400, v32
	ds_read2_b32 v[6:7], v2 offset0:68 offset1:104
	s_waitcnt lgkmcnt(0)
	v_lshrrev_b32_e32 v8, 16, v6
	s_waitcnt vmcnt(0)
	v_mul_f16_sdwa v9, v8, v3 dst_sel:DWORD dst_unused:UNUSED_PAD src0_sel:DWORD src1_sel:WORD_1
	v_mul_f16_sdwa v10, v6, v3 dst_sel:DWORD dst_unused:UNUSED_PAD src0_sel:DWORD src1_sel:WORD_1
	v_fmac_f16_e32 v9, v6, v3
	v_fma_f16 v3, v3, v8, -v10
	v_cvt_f32_f16_e32 v6, v9
	v_cvt_f32_f16_e32 v3, v3
	v_cvt_f64_f32_e32 v[8:9], v6
	v_cvt_f64_f32_e32 v[10:11], v3
	v_mul_f64 v[8:9], v[8:9], s[8:9]
	v_mul_f64 v[10:11], v[10:11], s[8:9]
	v_and_or_b32 v3, 0x1ff, v9, v8
	v_and_or_b32 v10, 0x1ff, v11, v10
	v_lshrrev_b32_e32 v6, 8, v9
	v_bfe_u32 v8, v9, 20, 11
	v_lshrrev_b32_e32 v12, 8, v11
	v_cmp_ne_u32_e32 vcc_lo, 0, v3
	v_bfe_u32 v13, v11, 20, 11
	v_lshrrev_b32_e32 v9, 16, v9
	v_sub_nc_u32_e32 v14, 0x3f1, v8
	v_add_nc_u32_e32 v8, 0xfffffc10, v8
	v_cndmask_b32_e64 v3, 0, 1, vcc_lo
	v_cmp_ne_u32_e32 vcc_lo, 0, v10
	v_and_or_b32 v3, 0xffe, v6, v3
	v_cndmask_b32_e64 v10, 0, 1, vcc_lo
	v_sub_nc_u32_e32 v6, 0x3f1, v13
	v_add_nc_u32_e32 v13, 0xfffffc10, v13
	v_and_or_b32 v10, 0xffe, v12, v10
	v_med3_i32 v12, v14, 0, 13
	v_or_b32_e32 v14, 0x1000, v3
	v_med3_i32 v6, v6, 0, 13
	v_or_b32_e32 v15, 0x1000, v10
	v_lshrrev_b32_e32 v16, v12, v14
	v_lshrrev_b32_e32 v17, v6, v15
	v_lshlrev_b32_e32 v12, v12, v16
	v_lshlrev_b32_e32 v6, v6, v17
	v_cmp_ne_u32_e32 vcc_lo, v12, v14
	v_lshl_or_b32 v14, v8, 12, v3
	v_cndmask_b32_e64 v12, 0, 1, vcc_lo
	v_cmp_ne_u32_e32 vcc_lo, v6, v15
	v_lshl_or_b32 v15, v13, 12, v10
	v_or_b32_e32 v12, v16, v12
	v_cndmask_b32_e64 v6, 0, 1, vcc_lo
	v_cmp_gt_i32_e32 vcc_lo, 1, v8
	v_or_b32_e32 v6, v17, v6
	v_cndmask_b32_e32 v12, v14, v12, vcc_lo
	v_cmp_gt_i32_e32 vcc_lo, 1, v13
	v_and_b32_e32 v14, 7, v12
	v_cndmask_b32_e32 v6, v15, v6, vcc_lo
	v_cmp_ne_u32_e32 vcc_lo, 0, v3
	v_lshrrev_b32_e32 v12, 2, v12
	v_cmp_eq_u32_e64 s0, 3, v14
	v_and_b32_e32 v15, 7, v6
	v_cndmask_b32_e64 v3, 0, 1, vcc_lo
	v_cmp_ne_u32_e32 vcc_lo, 0, v10
	v_lshrrev_b32_e32 v6, 2, v6
	v_cmp_lt_i32_e64 s1, 5, v15
	v_cmp_eq_u32_e64 s2, 3, v15
	v_cndmask_b32_e64 v10, 0, 1, vcc_lo
	v_cmp_lt_i32_e32 vcc_lo, 5, v14
	v_lshl_or_b32 v3, v3, 9, 0x7c00
	v_lshl_or_b32 v10, v10, 9, 0x7c00
	s_or_b32 vcc_lo, s0, vcc_lo
	v_add_co_ci_u32_e32 v12, vcc_lo, 0, v12, vcc_lo
	s_or_b32 vcc_lo, s2, s1
	v_add_co_ci_u32_e32 v6, vcc_lo, 0, v6, vcc_lo
	v_cmp_gt_i32_e32 vcc_lo, 31, v8
	v_cndmask_b32_e32 v12, 0x7c00, v12, vcc_lo
	v_cmp_gt_i32_e32 vcc_lo, 31, v13
	v_cndmask_b32_e32 v6, 0x7c00, v6, vcc_lo
	v_cmp_eq_u32_e32 vcc_lo, 0x40f, v8
	v_lshrrev_b32_e32 v8, 16, v11
	v_cndmask_b32_e32 v3, v12, v3, vcc_lo
	v_cmp_eq_u32_e32 vcc_lo, 0x40f, v13
	v_and_or_b32 v3, 0x8000, v9, v3
	v_cndmask_b32_e32 v6, v6, v10, vcc_lo
	v_and_or_b32 v6, 0x8000, v8, v6
	v_and_b32_e32 v8, 0xffff, v3
	v_add_co_u32 v3, vcc_lo, v4, s6
	v_add_co_ci_u32_e32 v4, vcc_lo, s3, v5, vcc_lo
	v_lshl_or_b32 v5, v6, 16, v8
	v_lshrrev_b32_e32 v6, 16, v7
	global_store_dword v[3:4], v5, off
	global_load_dword v5, v30, s[12:13] offset:1440
	s_waitcnt vmcnt(0)
	v_mul_f16_sdwa v8, v6, v5 dst_sel:DWORD dst_unused:UNUSED_PAD src0_sel:DWORD src1_sel:WORD_1
	v_mul_f16_sdwa v9, v7, v5 dst_sel:DWORD dst_unused:UNUSED_PAD src0_sel:DWORD src1_sel:WORD_1
	v_fmac_f16_e32 v8, v7, v5
	v_fma_f16 v5, v5, v6, -v9
	v_cvt_f32_f16_e32 v6, v8
	v_cvt_f32_f16_e32 v7, v5
	v_cvt_f64_f32_e32 v[5:6], v6
	v_cvt_f64_f32_e32 v[7:8], v7
	v_mul_f64 v[5:6], v[5:6], s[8:9]
	v_mul_f64 v[7:8], v[7:8], s[8:9]
	v_and_or_b32 v5, 0x1ff, v6, v5
	v_and_or_b32 v7, 0x1ff, v8, v7
	v_lshrrev_b32_e32 v9, 8, v6
	v_bfe_u32 v10, v6, 20, 11
	v_lshrrev_b32_e32 v11, 8, v8
	v_cmp_ne_u32_e32 vcc_lo, 0, v5
	v_bfe_u32 v12, v8, 20, 11
	v_lshrrev_b32_e32 v6, 16, v6
	v_sub_nc_u32_e32 v13, 0x3f1, v10
	v_add_nc_u32_e32 v10, 0xfffffc10, v10
	v_cndmask_b32_e64 v5, 0, 1, vcc_lo
	v_cmp_ne_u32_e32 vcc_lo, 0, v7
	v_lshrrev_b32_e32 v8, 16, v8
	v_and_or_b32 v5, 0xffe, v9, v5
	v_cndmask_b32_e64 v7, 0, 1, vcc_lo
	v_sub_nc_u32_e32 v9, 0x3f1, v12
	v_add_nc_u32_e32 v12, 0xfffffc10, v12
	v_and_or_b32 v7, 0xffe, v11, v7
	v_med3_i32 v11, v13, 0, 13
	v_or_b32_e32 v13, 0x1000, v5
	v_med3_i32 v9, v9, 0, 13
	v_or_b32_e32 v14, 0x1000, v7
	v_lshrrev_b32_e32 v15, v11, v13
	v_lshrrev_b32_e32 v16, v9, v14
	v_lshlrev_b32_e32 v11, v11, v15
	v_lshlrev_b32_e32 v9, v9, v16
	v_cmp_ne_u32_e32 vcc_lo, v11, v13
	v_lshl_or_b32 v13, v10, 12, v5
	v_cndmask_b32_e64 v11, 0, 1, vcc_lo
	v_cmp_ne_u32_e32 vcc_lo, v9, v14
	v_lshl_or_b32 v14, v12, 12, v7
	v_or_b32_e32 v11, v15, v11
	v_cndmask_b32_e64 v9, 0, 1, vcc_lo
	v_cmp_gt_i32_e32 vcc_lo, 1, v10
	v_or_b32_e32 v9, v16, v9
	v_cndmask_b32_e32 v11, v13, v11, vcc_lo
	v_cmp_gt_i32_e32 vcc_lo, 1, v12
	v_and_b32_e32 v13, 7, v11
	v_cndmask_b32_e32 v9, v14, v9, vcc_lo
	v_cmp_ne_u32_e32 vcc_lo, 0, v5
	v_lshrrev_b32_e32 v11, 2, v11
	v_cmp_eq_u32_e64 s0, 3, v13
	v_and_b32_e32 v14, 7, v9
	v_cndmask_b32_e64 v5, 0, 1, vcc_lo
	v_cmp_ne_u32_e32 vcc_lo, 0, v7
	v_lshrrev_b32_e32 v9, 2, v9
	v_cmp_lt_i32_e64 s1, 5, v14
	v_cmp_eq_u32_e64 s2, 3, v14
	v_cndmask_b32_e64 v7, 0, 1, vcc_lo
	v_cmp_lt_i32_e32 vcc_lo, 5, v13
	v_lshl_or_b32 v5, v5, 9, 0x7c00
	v_lshl_or_b32 v7, v7, 9, 0x7c00
	s_or_b32 vcc_lo, s0, vcc_lo
	v_add_co_ci_u32_e32 v11, vcc_lo, 0, v11, vcc_lo
	s_or_b32 vcc_lo, s2, s1
	v_add_co_ci_u32_e32 v9, vcc_lo, 0, v9, vcc_lo
	v_cmp_gt_i32_e32 vcc_lo, 31, v10
	v_cndmask_b32_e32 v11, 0x7c00, v11, vcc_lo
	v_cmp_gt_i32_e32 vcc_lo, 31, v12
	v_cndmask_b32_e32 v9, 0x7c00, v9, vcc_lo
	v_cmp_eq_u32_e32 vcc_lo, 0x40f, v10
	v_cndmask_b32_e32 v5, v11, v5, vcc_lo
	v_cmp_eq_u32_e32 vcc_lo, 0x40f, v12
	v_and_or_b32 v5, 0x8000, v6, v5
	v_cndmask_b32_e32 v7, v9, v7, vcc_lo
	v_add_co_u32 v3, vcc_lo, v3, s6
	v_add_co_ci_u32_e32 v4, vcc_lo, s3, v4, vcc_lo
	v_and_or_b32 v6, 0x8000, v8, v7
	v_and_b32_e32 v5, 0xffff, v5
	v_lshl_or_b32 v5, v6, 16, v5
	global_store_dword v[3:4], v5, off
	global_load_dword v7, v30, s[12:13] offset:1584
	ds_read2_b32 v[5:6], v2 offset0:140 offset1:176
	s_waitcnt lgkmcnt(0)
	v_lshrrev_b32_e32 v8, 16, v5
	s_waitcnt vmcnt(0)
	v_mul_f16_sdwa v9, v8, v7 dst_sel:DWORD dst_unused:UNUSED_PAD src0_sel:DWORD src1_sel:WORD_1
	v_mul_f16_sdwa v10, v5, v7 dst_sel:DWORD dst_unused:UNUSED_PAD src0_sel:DWORD src1_sel:WORD_1
	v_fmac_f16_e32 v9, v5, v7
	v_fma_f16 v5, v7, v8, -v10
	v_cvt_f32_f16_e32 v7, v9
	v_cvt_f32_f16_e32 v5, v5
	v_cvt_f64_f32_e32 v[7:8], v7
	v_cvt_f64_f32_e32 v[9:10], v5
	v_mul_f64 v[7:8], v[7:8], s[8:9]
	v_mul_f64 v[9:10], v[9:10], s[8:9]
	v_and_or_b32 v5, 0x1ff, v8, v7
	v_and_or_b32 v9, 0x1ff, v10, v9
	v_lshrrev_b32_e32 v7, 8, v8
	v_bfe_u32 v11, v8, 20, 11
	v_lshrrev_b32_e32 v12, 8, v10
	v_cmp_ne_u32_e32 vcc_lo, 0, v5
	v_bfe_u32 v13, v10, 20, 11
	v_lshrrev_b32_e32 v8, 16, v8
	v_sub_nc_u32_e32 v14, 0x3f1, v11
	v_add_nc_u32_e32 v11, 0xfffffc10, v11
	v_cndmask_b32_e64 v5, 0, 1, vcc_lo
	v_cmp_ne_u32_e32 vcc_lo, 0, v9
	v_lshrrev_b32_e32 v10, 16, v10
	v_and_or_b32 v5, 0xffe, v7, v5
	v_cndmask_b32_e64 v9, 0, 1, vcc_lo
	v_sub_nc_u32_e32 v7, 0x3f1, v13
	v_add_nc_u32_e32 v13, 0xfffffc10, v13
	v_and_or_b32 v9, 0xffe, v12, v9
	v_med3_i32 v12, v14, 0, 13
	v_or_b32_e32 v14, 0x1000, v5
	v_med3_i32 v7, v7, 0, 13
	v_or_b32_e32 v15, 0x1000, v9
	v_lshrrev_b32_e32 v16, v12, v14
	v_lshrrev_b32_e32 v17, v7, v15
	v_lshlrev_b32_e32 v12, v12, v16
	v_lshlrev_b32_e32 v7, v7, v17
	v_cmp_ne_u32_e32 vcc_lo, v12, v14
	v_lshl_or_b32 v14, v11, 12, v5
	v_cndmask_b32_e64 v12, 0, 1, vcc_lo
	v_cmp_ne_u32_e32 vcc_lo, v7, v15
	v_lshl_or_b32 v15, v13, 12, v9
	v_or_b32_e32 v12, v16, v12
	v_cndmask_b32_e64 v7, 0, 1, vcc_lo
	v_cmp_gt_i32_e32 vcc_lo, 1, v11
	v_or_b32_e32 v7, v17, v7
	v_cndmask_b32_e32 v12, v14, v12, vcc_lo
	v_cmp_gt_i32_e32 vcc_lo, 1, v13
	v_and_b32_e32 v14, 7, v12
	v_cndmask_b32_e32 v7, v15, v7, vcc_lo
	v_cmp_ne_u32_e32 vcc_lo, 0, v5
	v_lshrrev_b32_e32 v12, 2, v12
	v_cmp_eq_u32_e64 s0, 3, v14
	v_and_b32_e32 v15, 7, v7
	v_cndmask_b32_e64 v5, 0, 1, vcc_lo
	v_cmp_ne_u32_e32 vcc_lo, 0, v9
	v_lshrrev_b32_e32 v7, 2, v7
	v_cmp_lt_i32_e64 s1, 5, v15
	v_cmp_eq_u32_e64 s2, 3, v15
	v_cndmask_b32_e64 v9, 0, 1, vcc_lo
	v_cmp_lt_i32_e32 vcc_lo, 5, v14
	v_lshl_or_b32 v5, v5, 9, 0x7c00
	v_lshl_or_b32 v9, v9, 9, 0x7c00
	s_or_b32 vcc_lo, s0, vcc_lo
	v_add_co_ci_u32_e32 v12, vcc_lo, 0, v12, vcc_lo
	s_or_b32 vcc_lo, s2, s1
	v_add_co_ci_u32_e32 v7, vcc_lo, 0, v7, vcc_lo
	v_cmp_gt_i32_e32 vcc_lo, 31, v11
	v_cndmask_b32_e32 v12, 0x7c00, v12, vcc_lo
	v_cmp_gt_i32_e32 vcc_lo, 31, v13
	v_cndmask_b32_e32 v7, 0x7c00, v7, vcc_lo
	v_cmp_eq_u32_e32 vcc_lo, 0x40f, v11
	v_cndmask_b32_e32 v5, v12, v5, vcc_lo
	v_cmp_eq_u32_e32 vcc_lo, 0x40f, v13
	v_and_or_b32 v5, 0x8000, v8, v5
	v_cndmask_b32_e32 v7, v7, v9, vcc_lo
	v_add_co_u32 v3, vcc_lo, v3, s6
	v_add_co_ci_u32_e32 v4, vcc_lo, s3, v4, vcc_lo
	v_and_or_b32 v7, 0x8000, v10, v7
	v_and_b32_e32 v5, 0xffff, v5
	v_lshl_or_b32 v5, v7, 16, v5
	v_lshrrev_b32_e32 v7, 16, v6
	global_store_dword v[3:4], v5, off
	global_load_dword v5, v30, s[12:13] offset:1728
	s_waitcnt vmcnt(0)
	v_mul_f16_sdwa v8, v7, v5 dst_sel:DWORD dst_unused:UNUSED_PAD src0_sel:DWORD src1_sel:WORD_1
	v_mul_f16_sdwa v9, v6, v5 dst_sel:DWORD dst_unused:UNUSED_PAD src0_sel:DWORD src1_sel:WORD_1
	v_fmac_f16_e32 v8, v6, v5
	v_fma_f16 v5, v5, v7, -v9
	v_cvt_f32_f16_e32 v6, v8
	v_cvt_f32_f16_e32 v7, v5
	v_cvt_f64_f32_e32 v[5:6], v6
	v_cvt_f64_f32_e32 v[7:8], v7
	v_mul_f64 v[5:6], v[5:6], s[8:9]
	v_mul_f64 v[7:8], v[7:8], s[8:9]
	v_and_or_b32 v5, 0x1ff, v6, v5
	v_and_or_b32 v7, 0x1ff, v8, v7
	v_lshrrev_b32_e32 v9, 8, v6
	v_bfe_u32 v10, v6, 20, 11
	v_lshrrev_b32_e32 v11, 8, v8
	v_cmp_ne_u32_e32 vcc_lo, 0, v5
	v_bfe_u32 v12, v8, 20, 11
	v_lshrrev_b32_e32 v6, 16, v6
	v_sub_nc_u32_e32 v13, 0x3f1, v10
	v_add_nc_u32_e32 v10, 0xfffffc10, v10
	v_cndmask_b32_e64 v5, 0, 1, vcc_lo
	v_cmp_ne_u32_e32 vcc_lo, 0, v7
	v_lshrrev_b32_e32 v8, 16, v8
	v_and_or_b32 v5, 0xffe, v9, v5
	v_cndmask_b32_e64 v7, 0, 1, vcc_lo
	v_sub_nc_u32_e32 v9, 0x3f1, v12
	v_add_nc_u32_e32 v12, 0xfffffc10, v12
	v_and_or_b32 v7, 0xffe, v11, v7
	v_med3_i32 v11, v13, 0, 13
	v_or_b32_e32 v13, 0x1000, v5
	v_med3_i32 v9, v9, 0, 13
	v_or_b32_e32 v14, 0x1000, v7
	v_lshrrev_b32_e32 v15, v11, v13
	v_lshrrev_b32_e32 v16, v9, v14
	v_lshlrev_b32_e32 v11, v11, v15
	v_lshlrev_b32_e32 v9, v9, v16
	v_cmp_ne_u32_e32 vcc_lo, v11, v13
	v_lshl_or_b32 v13, v10, 12, v5
	v_cndmask_b32_e64 v11, 0, 1, vcc_lo
	v_cmp_ne_u32_e32 vcc_lo, v9, v14
	v_lshl_or_b32 v14, v12, 12, v7
	v_or_b32_e32 v11, v15, v11
	v_cndmask_b32_e64 v9, 0, 1, vcc_lo
	v_cmp_gt_i32_e32 vcc_lo, 1, v10
	v_or_b32_e32 v9, v16, v9
	v_cndmask_b32_e32 v11, v13, v11, vcc_lo
	v_cmp_gt_i32_e32 vcc_lo, 1, v12
	v_and_b32_e32 v13, 7, v11
	v_cndmask_b32_e32 v9, v14, v9, vcc_lo
	v_cmp_ne_u32_e32 vcc_lo, 0, v5
	v_lshrrev_b32_e32 v11, 2, v11
	v_cmp_eq_u32_e64 s0, 3, v13
	v_and_b32_e32 v14, 7, v9
	v_cndmask_b32_e64 v5, 0, 1, vcc_lo
	v_cmp_ne_u32_e32 vcc_lo, 0, v7
	v_lshrrev_b32_e32 v9, 2, v9
	v_cmp_lt_i32_e64 s1, 5, v14
	v_cmp_eq_u32_e64 s2, 3, v14
	v_cndmask_b32_e64 v7, 0, 1, vcc_lo
	v_cmp_lt_i32_e32 vcc_lo, 5, v13
	v_lshl_or_b32 v5, v5, 9, 0x7c00
	v_lshl_or_b32 v7, v7, 9, 0x7c00
	s_or_b32 vcc_lo, s0, vcc_lo
	v_add_co_ci_u32_e32 v11, vcc_lo, 0, v11, vcc_lo
	s_or_b32 vcc_lo, s2, s1
	v_add_co_ci_u32_e32 v9, vcc_lo, 0, v9, vcc_lo
	v_cmp_gt_i32_e32 vcc_lo, 31, v10
	v_cndmask_b32_e32 v11, 0x7c00, v11, vcc_lo
	v_cmp_gt_i32_e32 vcc_lo, 31, v12
	v_cndmask_b32_e32 v9, 0x7c00, v9, vcc_lo
	v_cmp_eq_u32_e32 vcc_lo, 0x40f, v10
	v_cndmask_b32_e32 v5, v11, v5, vcc_lo
	v_cmp_eq_u32_e32 vcc_lo, 0x40f, v12
	v_and_or_b32 v5, 0x8000, v6, v5
	v_cndmask_b32_e32 v7, v9, v7, vcc_lo
	v_add_co_u32 v3, vcc_lo, v3, s6
	v_add_co_ci_u32_e32 v4, vcc_lo, s3, v4, vcc_lo
	v_and_or_b32 v6, 0x8000, v8, v7
	v_and_b32_e32 v5, 0xffff, v5
	v_lshl_or_b32 v5, v6, 16, v5
	global_store_dword v[3:4], v5, off
	global_load_dword v7, v30, s[12:13] offset:1872
	ds_read2_b32 v[5:6], v2 offset0:212 offset1:248
	s_waitcnt lgkmcnt(0)
	v_lshrrev_b32_e32 v2, 16, v5
	s_waitcnt vmcnt(0)
	v_mul_f16_sdwa v8, v2, v7 dst_sel:DWORD dst_unused:UNUSED_PAD src0_sel:DWORD src1_sel:WORD_1
	v_mul_f16_sdwa v9, v5, v7 dst_sel:DWORD dst_unused:UNUSED_PAD src0_sel:DWORD src1_sel:WORD_1
	v_fmac_f16_e32 v8, v5, v7
	v_fma_f16 v2, v7, v2, -v9
	v_cvt_f32_f16_e32 v5, v8
	v_cvt_f32_f16_e32 v2, v2
	v_cvt_f64_f32_e32 v[7:8], v5
	v_cvt_f64_f32_e32 v[9:10], v2
	v_mul_f64 v[7:8], v[7:8], s[8:9]
	v_mul_f64 v[9:10], v[9:10], s[8:9]
	v_and_or_b32 v2, 0x1ff, v8, v7
	v_and_or_b32 v9, 0x1ff, v10, v9
	v_lshrrev_b32_e32 v5, 8, v8
	v_bfe_u32 v7, v8, 20, 11
	v_lshrrev_b32_e32 v11, 8, v10
	v_cmp_ne_u32_e32 vcc_lo, 0, v2
	v_bfe_u32 v12, v10, 20, 11
	v_lshrrev_b32_e32 v8, 16, v8
	v_sub_nc_u32_e32 v13, 0x3f1, v7
	v_add_nc_u32_e32 v7, 0xfffffc10, v7
	v_cndmask_b32_e64 v2, 0, 1, vcc_lo
	v_cmp_ne_u32_e32 vcc_lo, 0, v9
	v_and_or_b32 v2, 0xffe, v5, v2
	v_cndmask_b32_e64 v9, 0, 1, vcc_lo
	v_sub_nc_u32_e32 v5, 0x3f1, v12
	v_add_nc_u32_e32 v12, 0xfffffc10, v12
	v_and_or_b32 v9, 0xffe, v11, v9
	v_med3_i32 v11, v13, 0, 13
	v_or_b32_e32 v13, 0x1000, v2
	v_med3_i32 v5, v5, 0, 13
	v_or_b32_e32 v14, 0x1000, v9
	v_lshrrev_b32_e32 v15, v11, v13
	v_lshrrev_b32_e32 v16, v5, v14
	v_lshlrev_b32_e32 v11, v11, v15
	v_lshlrev_b32_e32 v5, v5, v16
	v_cmp_ne_u32_e32 vcc_lo, v11, v13
	v_lshl_or_b32 v13, v7, 12, v2
	v_cndmask_b32_e64 v11, 0, 1, vcc_lo
	v_cmp_ne_u32_e32 vcc_lo, v5, v14
	v_lshl_or_b32 v14, v12, 12, v9
	v_or_b32_e32 v11, v15, v11
	v_cndmask_b32_e64 v5, 0, 1, vcc_lo
	v_cmp_gt_i32_e32 vcc_lo, 1, v7
	v_or_b32_e32 v5, v16, v5
	v_cndmask_b32_e32 v11, v13, v11, vcc_lo
	v_cmp_gt_i32_e32 vcc_lo, 1, v12
	v_and_b32_e32 v13, 7, v11
	v_cndmask_b32_e32 v5, v14, v5, vcc_lo
	v_cmp_ne_u32_e32 vcc_lo, 0, v2
	v_lshrrev_b32_e32 v11, 2, v11
	v_cmp_eq_u32_e64 s0, 3, v13
	v_and_b32_e32 v14, 7, v5
	v_cndmask_b32_e64 v2, 0, 1, vcc_lo
	v_cmp_ne_u32_e32 vcc_lo, 0, v9
	v_lshrrev_b32_e32 v5, 2, v5
	v_cmp_lt_i32_e64 s1, 5, v14
	v_cmp_eq_u32_e64 s2, 3, v14
	v_cndmask_b32_e64 v9, 0, 1, vcc_lo
	v_cmp_lt_i32_e32 vcc_lo, 5, v13
	v_lshl_or_b32 v2, v2, 9, 0x7c00
	v_lshl_or_b32 v9, v9, 9, 0x7c00
	s_or_b32 vcc_lo, s0, vcc_lo
	v_add_co_ci_u32_e32 v11, vcc_lo, 0, v11, vcc_lo
	s_or_b32 vcc_lo, s2, s1
	v_add_co_ci_u32_e32 v5, vcc_lo, 0, v5, vcc_lo
	v_cmp_gt_i32_e32 vcc_lo, 31, v7
	v_cndmask_b32_e32 v11, 0x7c00, v11, vcc_lo
	v_cmp_gt_i32_e32 vcc_lo, 31, v12
	v_cndmask_b32_e32 v5, 0x7c00, v5, vcc_lo
	v_cmp_eq_u32_e32 vcc_lo, 0x40f, v7
	v_lshrrev_b32_e32 v7, 16, v10
	v_cndmask_b32_e32 v2, v11, v2, vcc_lo
	v_cmp_eq_u32_e32 vcc_lo, 0x40f, v12
	v_and_or_b32 v2, 0x8000, v8, v2
	v_cndmask_b32_e32 v5, v5, v9, vcc_lo
	v_and_or_b32 v5, 0x8000, v7, v5
	v_and_b32_e32 v7, 0xffff, v2
	v_add_co_u32 v2, vcc_lo, v3, s6
	v_add_co_ci_u32_e32 v3, vcc_lo, s3, v4, vcc_lo
	v_lshl_or_b32 v4, v5, 16, v7
	v_lshrrev_b32_e32 v5, 16, v6
	global_store_dword v[2:3], v4, off
	global_load_dword v4, v30, s[12:13] offset:2016
	s_waitcnt vmcnt(0)
	v_mul_f16_sdwa v7, v5, v4 dst_sel:DWORD dst_unused:UNUSED_PAD src0_sel:DWORD src1_sel:WORD_1
	v_mul_f16_sdwa v8, v6, v4 dst_sel:DWORD dst_unused:UNUSED_PAD src0_sel:DWORD src1_sel:WORD_1
	v_fmac_f16_e32 v7, v6, v4
	v_fma_f16 v4, v4, v5, -v8
	v_cvt_f32_f16_e32 v5, v7
	v_cvt_f32_f16_e32 v6, v4
	v_cvt_f64_f32_e32 v[4:5], v5
	v_cvt_f64_f32_e32 v[6:7], v6
	v_mul_f64 v[4:5], v[4:5], s[8:9]
	v_mul_f64 v[6:7], v[6:7], s[8:9]
	v_and_or_b32 v4, 0x1ff, v5, v4
	v_and_or_b32 v6, 0x1ff, v7, v6
	v_lshrrev_b32_e32 v8, 8, v5
	v_bfe_u32 v9, v5, 20, 11
	v_lshrrev_b32_e32 v10, 8, v7
	v_cmp_ne_u32_e32 vcc_lo, 0, v4
	v_bfe_u32 v11, v7, 20, 11
	v_lshrrev_b32_e32 v5, 16, v5
	v_sub_nc_u32_e32 v12, 0x3f1, v9
	v_add_nc_u32_e32 v9, 0xfffffc10, v9
	v_cndmask_b32_e64 v4, 0, 1, vcc_lo
	v_cmp_ne_u32_e32 vcc_lo, 0, v6
	v_lshrrev_b32_e32 v7, 16, v7
	v_and_or_b32 v4, 0xffe, v8, v4
	v_cndmask_b32_e64 v6, 0, 1, vcc_lo
	v_sub_nc_u32_e32 v8, 0x3f1, v11
	v_add_nc_u32_e32 v11, 0xfffffc10, v11
	v_and_or_b32 v6, 0xffe, v10, v6
	v_med3_i32 v10, v12, 0, 13
	v_or_b32_e32 v12, 0x1000, v4
	v_med3_i32 v8, v8, 0, 13
	v_or_b32_e32 v13, 0x1000, v6
	v_lshrrev_b32_e32 v14, v10, v12
	v_lshrrev_b32_e32 v15, v8, v13
	v_lshlrev_b32_e32 v10, v10, v14
	v_lshlrev_b32_e32 v8, v8, v15
	v_cmp_ne_u32_e32 vcc_lo, v10, v12
	v_lshl_or_b32 v12, v9, 12, v4
	v_cndmask_b32_e64 v10, 0, 1, vcc_lo
	v_cmp_ne_u32_e32 vcc_lo, v8, v13
	v_lshl_or_b32 v13, v11, 12, v6
	v_or_b32_e32 v10, v14, v10
	v_cndmask_b32_e64 v8, 0, 1, vcc_lo
	v_cmp_gt_i32_e32 vcc_lo, 1, v9
	v_or_b32_e32 v8, v15, v8
	v_cndmask_b32_e32 v10, v12, v10, vcc_lo
	v_cmp_gt_i32_e32 vcc_lo, 1, v11
	v_and_b32_e32 v12, 7, v10
	v_cndmask_b32_e32 v8, v13, v8, vcc_lo
	v_cmp_ne_u32_e32 vcc_lo, 0, v4
	v_lshrrev_b32_e32 v10, 2, v10
	v_cmp_eq_u32_e64 s0, 3, v12
	v_and_b32_e32 v13, 7, v8
	v_cndmask_b32_e64 v4, 0, 1, vcc_lo
	v_cmp_ne_u32_e32 vcc_lo, 0, v6
	v_lshrrev_b32_e32 v8, 2, v8
	v_cmp_lt_i32_e64 s1, 5, v13
	v_cmp_eq_u32_e64 s2, 3, v13
	v_cndmask_b32_e64 v6, 0, 1, vcc_lo
	v_cmp_lt_i32_e32 vcc_lo, 5, v12
	v_lshl_or_b32 v4, v4, 9, 0x7c00
	v_lshl_or_b32 v6, v6, 9, 0x7c00
	s_or_b32 vcc_lo, s0, vcc_lo
	v_add_co_ci_u32_e32 v10, vcc_lo, 0, v10, vcc_lo
	s_or_b32 vcc_lo, s2, s1
	v_add_co_ci_u32_e32 v8, vcc_lo, 0, v8, vcc_lo
	v_cmp_gt_i32_e32 vcc_lo, 31, v9
	v_cndmask_b32_e32 v10, 0x7c00, v10, vcc_lo
	v_cmp_gt_i32_e32 vcc_lo, 31, v11
	v_cndmask_b32_e32 v8, 0x7c00, v8, vcc_lo
	v_cmp_eq_u32_e32 vcc_lo, 0x40f, v9
	v_cndmask_b32_e32 v4, v10, v4, vcc_lo
	v_cmp_eq_u32_e32 vcc_lo, 0x40f, v11
	v_and_or_b32 v4, 0x8000, v5, v4
	v_cndmask_b32_e32 v6, v8, v6, vcc_lo
	v_add_co_u32 v5, s0, s12, v30
	v_add_co_ci_u32_e64 v8, null, s13, 0, s0
	v_and_or_b32 v6, 0x8000, v7, v6
	v_and_b32_e32 v4, 0xffff, v4
	v_add_co_u32 v2, vcc_lo, v2, s6
	v_add_co_ci_u32_e32 v3, vcc_lo, s3, v3, vcc_lo
	v_lshl_or_b32 v6, v6, 16, v4
	v_add_co_u32 v4, vcc_lo, 0x800, v5
	v_add_co_ci_u32_e32 v5, vcc_lo, 0, v8, vcc_lo
	global_store_dword v[2:3], v6, off
	global_load_dword v6, v[4:5], off offset:112
	v_add_nc_u32_e32 v4, 0x800, v32
	ds_read2_b32 v[4:5], v4 offset0:28 offset1:64
	s_waitcnt lgkmcnt(0)
	v_lshrrev_b32_e32 v7, 16, v4
	s_waitcnt vmcnt(0)
	v_mul_f16_sdwa v8, v7, v6 dst_sel:DWORD dst_unused:UNUSED_PAD src0_sel:DWORD src1_sel:WORD_1
	v_mul_f16_sdwa v9, v4, v6 dst_sel:DWORD dst_unused:UNUSED_PAD src0_sel:DWORD src1_sel:WORD_1
	v_fmac_f16_e32 v8, v4, v6
	v_fma_f16 v4, v6, v7, -v9
	v_cvt_f32_f16_e32 v6, v8
	v_cvt_f32_f16_e32 v4, v4
	v_cvt_f64_f32_e32 v[6:7], v6
	v_cvt_f64_f32_e32 v[8:9], v4
	v_mul_f64 v[6:7], v[6:7], s[8:9]
	v_mul_f64 v[8:9], v[8:9], s[8:9]
	v_and_or_b32 v4, 0x1ff, v7, v6
	v_and_or_b32 v8, 0x1ff, v9, v8
	v_lshrrev_b32_e32 v6, 8, v7
	v_bfe_u32 v10, v7, 20, 11
	v_lshrrev_b32_e32 v11, 8, v9
	v_cmp_ne_u32_e32 vcc_lo, 0, v4
	v_bfe_u32 v12, v9, 20, 11
	v_lshrrev_b32_e32 v7, 16, v7
	v_sub_nc_u32_e32 v13, 0x3f1, v10
	v_add_nc_u32_e32 v10, 0xfffffc10, v10
	v_cndmask_b32_e64 v4, 0, 1, vcc_lo
	v_cmp_ne_u32_e32 vcc_lo, 0, v8
	v_lshrrev_b32_e32 v9, 16, v9
	v_and_or_b32 v4, 0xffe, v6, v4
	v_cndmask_b32_e64 v8, 0, 1, vcc_lo
	v_sub_nc_u32_e32 v6, 0x3f1, v12
	v_add_nc_u32_e32 v12, 0xfffffc10, v12
	v_and_or_b32 v8, 0xffe, v11, v8
	v_med3_i32 v11, v13, 0, 13
	v_or_b32_e32 v13, 0x1000, v4
	v_med3_i32 v6, v6, 0, 13
	v_or_b32_e32 v14, 0x1000, v8
	v_lshrrev_b32_e32 v15, v11, v13
	v_lshrrev_b32_e32 v16, v6, v14
	v_lshlrev_b32_e32 v11, v11, v15
	v_lshlrev_b32_e32 v6, v6, v16
	v_cmp_ne_u32_e32 vcc_lo, v11, v13
	v_lshl_or_b32 v13, v10, 12, v4
	v_cndmask_b32_e64 v11, 0, 1, vcc_lo
	v_cmp_ne_u32_e32 vcc_lo, v6, v14
	v_lshl_or_b32 v14, v12, 12, v8
	v_or_b32_e32 v11, v15, v11
	v_cndmask_b32_e64 v6, 0, 1, vcc_lo
	v_cmp_gt_i32_e32 vcc_lo, 1, v10
	v_or_b32_e32 v6, v16, v6
	v_cndmask_b32_e32 v11, v13, v11, vcc_lo
	v_cmp_gt_i32_e32 vcc_lo, 1, v12
	v_and_b32_e32 v13, 7, v11
	v_cndmask_b32_e32 v6, v14, v6, vcc_lo
	v_cmp_ne_u32_e32 vcc_lo, 0, v4
	v_lshrrev_b32_e32 v11, 2, v11
	v_cmp_eq_u32_e64 s0, 3, v13
	v_and_b32_e32 v14, 7, v6
	v_cndmask_b32_e64 v4, 0, 1, vcc_lo
	v_cmp_ne_u32_e32 vcc_lo, 0, v8
	v_lshrrev_b32_e32 v6, 2, v6
	v_cmp_lt_i32_e64 s1, 5, v14
	v_cmp_eq_u32_e64 s2, 3, v14
	v_cndmask_b32_e64 v8, 0, 1, vcc_lo
	v_cmp_lt_i32_e32 vcc_lo, 5, v13
	v_lshl_or_b32 v4, v4, 9, 0x7c00
	v_lshl_or_b32 v8, v8, 9, 0x7c00
	s_or_b32 vcc_lo, s0, vcc_lo
	v_add_co_ci_u32_e32 v11, vcc_lo, 0, v11, vcc_lo
	s_or_b32 vcc_lo, s2, s1
	v_add_co_ci_u32_e32 v6, vcc_lo, 0, v6, vcc_lo
	v_cmp_gt_i32_e32 vcc_lo, 31, v10
	v_cndmask_b32_e32 v11, 0x7c00, v11, vcc_lo
	v_cmp_gt_i32_e32 vcc_lo, 31, v12
	v_cndmask_b32_e32 v6, 0x7c00, v6, vcc_lo
	v_cmp_eq_u32_e32 vcc_lo, 0x40f, v10
	v_cndmask_b32_e32 v4, v11, v4, vcc_lo
	v_cmp_eq_u32_e32 vcc_lo, 0x40f, v12
	v_and_or_b32 v4, 0x8000, v7, v4
	v_cndmask_b32_e32 v6, v6, v8, vcc_lo
	v_add_co_u32 v2, vcc_lo, v2, s6
	v_add_co_ci_u32_e32 v3, vcc_lo, s3, v3, vcc_lo
	v_and_or_b32 v6, 0x8000, v9, v6
	v_and_b32_e32 v4, 0xffff, v4
	v_lshl_or_b32 v4, v6, 16, v4
	v_lshlrev_b32_e32 v6, 2, v29
	global_store_dword v[2:3], v4, off
	global_load_dword v2, v6, s[12:13]
	v_lshrrev_b32_e32 v3, 16, v5
	s_waitcnt vmcnt(0)
	v_mul_f16_sdwa v4, v3, v2 dst_sel:DWORD dst_unused:UNUSED_PAD src0_sel:DWORD src1_sel:WORD_1
	v_mul_f16_sdwa v6, v5, v2 dst_sel:DWORD dst_unused:UNUSED_PAD src0_sel:DWORD src1_sel:WORD_1
	v_fmac_f16_e32 v4, v5, v2
	v_fma_f16 v2, v2, v3, -v6
	v_cvt_f32_f16_e32 v3, v4
	v_cvt_f32_f16_e32 v4, v2
	v_cvt_f64_f32_e32 v[2:3], v3
	v_cvt_f64_f32_e32 v[4:5], v4
	v_mul_f64 v[2:3], v[2:3], s[8:9]
	v_mul_f64 v[4:5], v[4:5], s[8:9]
	v_and_or_b32 v2, 0x1ff, v3, v2
	v_and_or_b32 v4, 0x1ff, v5, v4
	v_lshrrev_b32_e32 v6, 8, v3
	v_bfe_u32 v8, v3, 20, 11
	v_bfe_u32 v9, v5, 20, 11
	v_cmp_ne_u32_e32 vcc_lo, 0, v2
	v_lshrrev_b32_e32 v7, 8, v5
	v_lshrrev_b32_e32 v5, 16, v5
	v_sub_nc_u32_e32 v10, 0x3f1, v8
	v_sub_nc_u32_e32 v11, 0x3f1, v9
	v_cndmask_b32_e64 v2, 0, 1, vcc_lo
	v_cmp_ne_u32_e32 vcc_lo, 0, v4
	v_add_nc_u32_e32 v9, 0xfffffc10, v9
	v_and_or_b32 v12, 0xffe, v6, v2
	v_cndmask_b32_e64 v4, 0, 1, vcc_lo
	v_med3_i32 v2, v10, 0, 13
	v_med3_i32 v10, v11, 0, 13
	v_or_b32_e32 v11, 0x1000, v12
	v_and_or_b32 v4, 0xffe, v7, v4
	v_mad_u64_u32 v[6:7], null, s4, v29, 0
	v_lshrrev_b32_e32 v14, v2, v11
	v_or_b32_e32 v13, 0x1000, v4
	v_lshlrev_b32_e32 v16, v2, v14
	v_lshrrev_b32_e32 v15, v10, v13
	v_mov_b32_e32 v2, v7
	v_cmp_ne_u32_e32 vcc_lo, v16, v11
	v_lshlrev_b32_e32 v7, v10, v15
	v_add_nc_u32_e32 v10, 0xfffffc10, v8
	v_cndmask_b32_e64 v11, 0, 1, vcc_lo
	v_cmp_ne_u32_e32 vcc_lo, v7, v13
	v_mad_u64_u32 v[7:8], null, s5, v29, v[2:3]
	v_lshl_or_b32 v2, v10, 12, v12
	v_or_b32_e32 v8, v14, v11
	v_cndmask_b32_e64 v13, 0, 1, vcc_lo
	v_cmp_gt_i32_e32 vcc_lo, 1, v10
	v_lshl_or_b32 v11, v9, 12, v4
	v_lshrrev_b32_e32 v3, 16, v3
	v_or_b32_e32 v13, v15, v13
	v_cndmask_b32_e32 v2, v2, v8, vcc_lo
	v_cmp_gt_i32_e32 vcc_lo, 1, v9
	v_cndmask_b32_e32 v8, v11, v13, vcc_lo
	v_cmp_ne_u32_e32 vcc_lo, 0, v12
	v_and_b32_e32 v12, 7, v2
	v_lshrrev_b32_e32 v2, 2, v2
	v_and_b32_e32 v13, 7, v8
	v_cndmask_b32_e64 v11, 0, 1, vcc_lo
	v_cmp_ne_u32_e32 vcc_lo, 0, v4
	v_cmp_eq_u32_e64 s0, 3, v12
	v_lshrrev_b32_e32 v8, 2, v8
	v_cmp_lt_i32_e64 s1, 5, v13
	v_cmp_eq_u32_e64 s2, 3, v13
	v_cndmask_b32_e64 v4, 0, 1, vcc_lo
	v_cmp_lt_i32_e32 vcc_lo, 5, v12
	v_lshl_or_b32 v11, v11, 9, 0x7c00
	v_lshl_or_b32 v4, v4, 9, 0x7c00
	s_or_b32 vcc_lo, s0, vcc_lo
	v_add_co_ci_u32_e32 v2, vcc_lo, 0, v2, vcc_lo
	s_or_b32 vcc_lo, s2, s1
	v_add_co_ci_u32_e32 v8, vcc_lo, 0, v8, vcc_lo
	v_cmp_gt_i32_e32 vcc_lo, 31, v10
	v_cndmask_b32_e32 v2, 0x7c00, v2, vcc_lo
	v_cmp_gt_i32_e32 vcc_lo, 31, v9
	v_cndmask_b32_e32 v8, 0x7c00, v8, vcc_lo
	v_cmp_eq_u32_e32 vcc_lo, 0x40f, v10
	v_cndmask_b32_e32 v2, v2, v11, vcc_lo
	v_cmp_eq_u32_e32 vcc_lo, 0x40f, v9
	v_and_or_b32 v2, 0x8000, v3, v2
	v_cndmask_b32_e32 v4, v8, v4, vcc_lo
	v_and_or_b32 v4, 0x8000, v5, v4
	v_and_b32_e32 v5, 0xffff, v2
	v_lshlrev_b64 v[2:3], 2, v[6:7]
	v_lshl_or_b32 v4, v4, 16, v5
	v_add_co_u32 v0, vcc_lo, v0, v2
	v_add_co_ci_u32_e32 v1, vcc_lo, v1, v3, vcc_lo
	global_store_dword v[0:1], v4, off
.LBB0_15:
	s_endpgm
	.section	.rodata,"a",@progbits
	.p2align	6, 0x0
	.amdhsa_kernel bluestein_single_back_len612_dim1_half_op_CI_CI
		.amdhsa_group_segment_fixed_size 2448
		.amdhsa_private_segment_fixed_size 0
		.amdhsa_kernarg_size 104
		.amdhsa_user_sgpr_count 6
		.amdhsa_user_sgpr_private_segment_buffer 1
		.amdhsa_user_sgpr_dispatch_ptr 0
		.amdhsa_user_sgpr_queue_ptr 0
		.amdhsa_user_sgpr_kernarg_segment_ptr 1
		.amdhsa_user_sgpr_dispatch_id 0
		.amdhsa_user_sgpr_flat_scratch_init 0
		.amdhsa_user_sgpr_private_segment_size 0
		.amdhsa_wavefront_size32 1
		.amdhsa_uses_dynamic_stack 0
		.amdhsa_system_sgpr_private_segment_wavefront_offset 0
		.amdhsa_system_sgpr_workgroup_id_x 1
		.amdhsa_system_sgpr_workgroup_id_y 0
		.amdhsa_system_sgpr_workgroup_id_z 0
		.amdhsa_system_sgpr_workgroup_info 0
		.amdhsa_system_vgpr_workitem_id 0
		.amdhsa_next_free_vgpr 183
		.amdhsa_next_free_sgpr 16
		.amdhsa_reserve_vcc 1
		.amdhsa_reserve_flat_scratch 0
		.amdhsa_float_round_mode_32 0
		.amdhsa_float_round_mode_16_64 0
		.amdhsa_float_denorm_mode_32 3
		.amdhsa_float_denorm_mode_16_64 3
		.amdhsa_dx10_clamp 1
		.amdhsa_ieee_mode 1
		.amdhsa_fp16_overflow 0
		.amdhsa_workgroup_processor_mode 1
		.amdhsa_memory_ordered 1
		.amdhsa_forward_progress 0
		.amdhsa_shared_vgpr_count 0
		.amdhsa_exception_fp_ieee_invalid_op 0
		.amdhsa_exception_fp_denorm_src 0
		.amdhsa_exception_fp_ieee_div_zero 0
		.amdhsa_exception_fp_ieee_overflow 0
		.amdhsa_exception_fp_ieee_underflow 0
		.amdhsa_exception_fp_ieee_inexact 0
		.amdhsa_exception_int_div_zero 0
	.end_amdhsa_kernel
	.text
.Lfunc_end0:
	.size	bluestein_single_back_len612_dim1_half_op_CI_CI, .Lfunc_end0-bluestein_single_back_len612_dim1_half_op_CI_CI
                                        ; -- End function
	.section	.AMDGPU.csdata,"",@progbits
; Kernel info:
; codeLenInByte = 28416
; NumSgprs: 18
; NumVgprs: 183
; ScratchSize: 0
; MemoryBound: 0
; FloatMode: 240
; IeeeMode: 1
; LDSByteSize: 2448 bytes/workgroup (compile time only)
; SGPRBlocks: 2
; VGPRBlocks: 22
; NumSGPRsForWavesPerEU: 18
; NumVGPRsForWavesPerEU: 183
; Occupancy: 5
; WaveLimiterHint : 1
; COMPUTE_PGM_RSRC2:SCRATCH_EN: 0
; COMPUTE_PGM_RSRC2:USER_SGPR: 6
; COMPUTE_PGM_RSRC2:TRAP_HANDLER: 0
; COMPUTE_PGM_RSRC2:TGID_X_EN: 1
; COMPUTE_PGM_RSRC2:TGID_Y_EN: 0
; COMPUTE_PGM_RSRC2:TGID_Z_EN: 0
; COMPUTE_PGM_RSRC2:TIDIG_COMP_CNT: 0
	.text
	.p2alignl 6, 3214868480
	.fill 48, 4, 3214868480
	.type	__hip_cuid_301d74858f346c4d,@object ; @__hip_cuid_301d74858f346c4d
	.section	.bss,"aw",@nobits
	.globl	__hip_cuid_301d74858f346c4d
__hip_cuid_301d74858f346c4d:
	.byte	0                               ; 0x0
	.size	__hip_cuid_301d74858f346c4d, 1

	.ident	"AMD clang version 19.0.0git (https://github.com/RadeonOpenCompute/llvm-project roc-6.4.0 25133 c7fe45cf4b819c5991fe208aaa96edf142730f1d)"
	.section	".note.GNU-stack","",@progbits
	.addrsig
	.addrsig_sym __hip_cuid_301d74858f346c4d
	.amdgpu_metadata
---
amdhsa.kernels:
  - .args:
      - .actual_access:  read_only
        .address_space:  global
        .offset:         0
        .size:           8
        .value_kind:     global_buffer
      - .actual_access:  read_only
        .address_space:  global
        .offset:         8
        .size:           8
        .value_kind:     global_buffer
      - .actual_access:  read_only
        .address_space:  global
        .offset:         16
        .size:           8
        .value_kind:     global_buffer
      - .actual_access:  read_only
        .address_space:  global
        .offset:         24
        .size:           8
        .value_kind:     global_buffer
      - .actual_access:  read_only
        .address_space:  global
        .offset:         32
        .size:           8
        .value_kind:     global_buffer
      - .offset:         40
        .size:           8
        .value_kind:     by_value
      - .address_space:  global
        .offset:         48
        .size:           8
        .value_kind:     global_buffer
      - .address_space:  global
        .offset:         56
        .size:           8
        .value_kind:     global_buffer
      - .address_space:  global
        .offset:         64
        .size:           8
        .value_kind:     global_buffer
      - .address_space:  global
        .offset:         72
        .size:           8
        .value_kind:     global_buffer
      - .offset:         80
        .size:           4
        .value_kind:     by_value
      - .address_space:  global
        .offset:         88
        .size:           8
        .value_kind:     global_buffer
      - .address_space:  global
        .offset:         96
        .size:           8
        .value_kind:     global_buffer
    .group_segment_fixed_size: 2448
    .kernarg_segment_align: 8
    .kernarg_segment_size: 104
    .language:       OpenCL C
    .language_version:
      - 2
      - 0
    .max_flat_workgroup_size: 51
    .name:           bluestein_single_back_len612_dim1_half_op_CI_CI
    .private_segment_fixed_size: 0
    .sgpr_count:     18
    .sgpr_spill_count: 0
    .symbol:         bluestein_single_back_len612_dim1_half_op_CI_CI.kd
    .uniform_work_group_size: 1
    .uses_dynamic_stack: false
    .vgpr_count:     183
    .vgpr_spill_count: 0
    .wavefront_size: 32
    .workgroup_processor_mode: 1
amdhsa.target:   amdgcn-amd-amdhsa--gfx1030
amdhsa.version:
  - 1
  - 2
...

	.end_amdgpu_metadata
